;; amdgpu-corpus repo=ROCm/rocSOLVER kind=compiled arch=gfx950 opt=O3
	.amdgcn_target "amdgcn-amd-amdhsa--gfx950"
	.amdhsa_code_object_version 6
	.section	.text._ZN9rocsolver6v33100L18larfg_kernel_smallILi64E19rocblas_complex_numIdEidPS3_EEvT1_T3_llPT2_llS6_lS5_lPT0_l,"axG",@progbits,_ZN9rocsolver6v33100L18larfg_kernel_smallILi64E19rocblas_complex_numIdEidPS3_EEvT1_T3_llPT2_llS6_lS5_lPT0_l,comdat
	.globl	_ZN9rocsolver6v33100L18larfg_kernel_smallILi64E19rocblas_complex_numIdEidPS3_EEvT1_T3_llPT2_llS6_lS5_lPT0_l ; -- Begin function _ZN9rocsolver6v33100L18larfg_kernel_smallILi64E19rocblas_complex_numIdEidPS3_EEvT1_T3_llPT2_llS6_lS5_lPT0_l
	.p2align	8
	.type	_ZN9rocsolver6v33100L18larfg_kernel_smallILi64E19rocblas_complex_numIdEidPS3_EEvT1_T3_llPT2_llS6_lS5_lPT0_l,@function
_ZN9rocsolver6v33100L18larfg_kernel_smallILi64E19rocblas_complex_numIdEidPS3_EEvT1_T3_llPT2_llS6_lS5_lPT0_l: ; @_ZN9rocsolver6v33100L18larfg_kernel_smallILi64E19rocblas_complex_numIdEidPS3_EEvT1_T3_llPT2_llS6_lS5_lPT0_l
; %bb.0:
	s_load_dwordx16 s[4:19], s[0:1], 0x8
	s_ashr_i32 s2, s3, 31
	s_mov_b64 s[20:21], 0
	s_waitcnt lgkmcnt(0)
	s_cmp_eq_u64 s[10:11], 0
	s_cbranch_scc1 .LBB0_2
; %bb.1:
	s_mul_i32 s20, s14, s2
	s_mul_hi_u32 s21, s14, s3
	s_add_i32 s20, s21, s20
	s_mul_i32 s15, s15, s3
	s_add_i32 s15, s20, s15
	s_mul_i32 s14, s14, s3
	s_lshl_b64 s[14:15], s[14:15], 3
	s_add_u32 s14, s10, s14
	s_addc_u32 s15, s11, s15
	s_lshl_b64 s[10:11], s[12:13], 3
	s_add_u32 s20, s14, s10
	s_addc_u32 s21, s15, s11
.LBB0_2:
	s_load_dwordx4 s[12:15], s[0:1], 0x50
	s_load_dword s24, s[0:1], 0x0
	s_load_dword s25, s[0:1], 0x48
	s_load_dwordx2 s[22:23], s[0:1], 0x60
	v_mov_b64_e32 v[2:3], 0
	s_waitcnt lgkmcnt(0)
	s_mul_i32 s0, s12, s2
	s_mul_hi_u32 s1, s12, s3
	s_add_i32 s0, s1, s0
	s_mul_i32 s1, s13, s3
	s_add_i32 s1, s0, s1
	s_mul_i32 s0, s12, s3
	s_lshl_b64 s[0:1], s[0:1], 4
	s_add_u32 s10, s16, s0
	s_addc_u32 s11, s17, s1
	s_lshl_b64 s[0:1], s[18:19], 4
	s_add_u32 s10, s10, s0
	s_addc_u32 s11, s11, s1
	s_add_i32 s24, s24, -1
	v_cmp_gt_i32_e64 s[0:1], s24, v0
	v_mul_lo_u32 v6, v0, s25
	v_mov_b64_e32 v[4:5], 0
	s_and_saveexec_b64 s[12:13], s[0:1]
	s_cbranch_execz .LBB0_6
; %bb.3:
	v_mul_lo_u32 v8, v0, s25
	s_lshl_b32 s18, s25, 6
	v_mov_b64_e32 v[2:3], 0
	s_mov_b64 s[16:17], 0
	v_mov_b32_e32 v1, v0
	v_mov_b64_e32 v[4:5], 0
.LBB0_4:                                ; =>This Inner Loop Header: Depth=1
	v_ashrrev_i32_e32 v9, 31, v8
	v_lshl_add_u64 v[10:11], v[8:9], 4, s[10:11]
	global_load_dwordx4 v[10:13], v[10:11], off
	v_add_u32_e32 v1, 64, v1
	v_cmp_le_i32_e32 vcc, s24, v1
	s_or_b64 s[16:17], vcc, s[16:17]
	v_add_u32_e32 v8, s18, v8
	s_waitcnt vmcnt(0)
	v_mul_f64 v[14:15], v[12:13], v[12:13]
	v_mul_f64 v[16:17], v[10:11], v[12:13]
	v_fmac_f64_e32 v[14:15], v[10:11], v[10:11]
	v_fma_f64 v[10:11], v[10:11], v[12:13], -v[16:17]
	v_add_f64 v[4:5], v[4:5], v[14:15]
	v_add_f64 v[2:3], v[2:3], v[10:11]
	s_andn2_b64 exec, exec, s[16:17]
	s_cbranch_execnz .LBB0_4
; %bb.5:
	s_or_b64 exec, exec, s[16:17]
.LBB0_6:
	s_or_b64 exec, exec, s[12:13]
	v_mbcnt_lo_u32_b32 v1, -1, 0
	v_mbcnt_hi_u32_b32 v1, -1, v1
	v_and_b32_e32 v7, 63, v1
	v_cmp_ne_u32_e32 vcc, 63, v7
	s_nop 1
	v_addc_co_u32_e32 v8, vcc, 0, v1, vcc
	v_lshlrev_b32_e32 v11, 2, v8
	ds_bpermute_b32 v8, v11, v4
	ds_bpermute_b32 v9, v11, v5
	ds_bpermute_b32 v10, v11, v2
	ds_bpermute_b32 v11, v11, v3
	v_cmp_gt_u32_e32 vcc, 62, v7
	s_waitcnt lgkmcnt(2)
	v_add_f64 v[4:5], v[4:5], v[8:9]
	v_cndmask_b32_e64 v8, 0, 2, vcc
	s_waitcnt lgkmcnt(0)
	v_add_f64 v[2:3], v[2:3], v[10:11]
	v_add_lshl_u32 v11, v8, v1, 2
	ds_bpermute_b32 v8, v11, v4
	ds_bpermute_b32 v9, v11, v5
	ds_bpermute_b32 v10, v11, v2
	ds_bpermute_b32 v11, v11, v3
	v_cmp_gt_u32_e32 vcc, 60, v7
	s_waitcnt lgkmcnt(2)
	v_add_f64 v[4:5], v[4:5], v[8:9]
	v_cndmask_b32_e64 v8, 0, 4, vcc
	s_waitcnt lgkmcnt(0)
	v_add_f64 v[2:3], v[2:3], v[10:11]
	v_add_lshl_u32 v11, v8, v1, 2
	;; [unrolled: 11-line block ×4, first 2 shown]
	ds_bpermute_b32 v8, v7, v4
	ds_bpermute_b32 v9, v7, v5
	;; [unrolled: 1-line block ×4, first 2 shown]
	v_cmp_eq_u32_e32 vcc, 0, v0
	s_waitcnt lgkmcnt(2)
	v_add_f64 v[4:5], v[4:5], v[8:9]
	s_waitcnt lgkmcnt(0)
	v_add_f64 v[8:9], v[2:3], v[10:11]
	v_mov_b32_e32 v2, 0x80
	v_lshl_or_b32 v1, v1, 2, v2
	ds_bpermute_b32 v2, v1, v4
	ds_bpermute_b32 v3, v1, v5
	;; [unrolled: 1-line block ×4, first 2 shown]
	s_waitcnt lgkmcnt(2)
	v_add_f64 v[2:3], v[4:5], v[2:3]
	s_waitcnt lgkmcnt(0)
	v_add_f64 v[4:5], v[8:9], v[10:11]
	s_and_saveexec_b64 s[12:13], vcc
; %bb.7:
	v_lshrrev_b32_e32 v1, 2, v0
	ds_write_b128 v1, v[2:5]
; %bb.8:
	s_or_b64 exec, exec, s[12:13]
	v_cmp_eq_u32_e32 vcc, 0, v0
	s_waitcnt lgkmcnt(0)
	; wave barrier
	s_and_saveexec_b64 s[12:13], vcc
; %bb.9:
	v_mov_b32_e32 v1, 0
	ds_write_b128 v1, v[2:5]
; %bb.10:
	s_or_b64 exec, exec, s[12:13]
	s_waitcnt lgkmcnt(0)
	; wave barrier
	s_and_saveexec_b64 s[12:13], vcc
	s_cbranch_execz .LBB0_20
; %bb.11:
	s_mul_i32 s16, s8, s2
	s_mul_hi_u32 s17, s8, s3
	s_add_i32 s16, s17, s16
	s_mul_i32 s9, s9, s3
	s_add_i32 s9, s16, s9
	s_mul_i32 s8, s8, s3
	s_lshl_b64 s[8:9], s[8:9], 4
	s_add_u32 s8, s4, s8
	s_addc_u32 s9, s5, s9
	s_lshl_b64 s[4:5], s[6:7], 4
	s_add_u32 s8, s8, s4
	s_addc_u32 s9, s9, s5
	v_mov_b32_e32 v2, 0
	s_mul_i32 s2, s22, s2
	s_mul_hi_u32 s4, s22, s3
	s_load_dwordx2 s[16:17], s[8:9], 0x8
	ds_read_b64 v[10:11], v2
	s_add_i32 s2, s4, s2
	s_mul_i32 s4, s23, s3
	s_add_i32 s5, s2, s4
	s_mul_i32 s4, s22, s3
	s_lshl_b64 s[2:3], s[4:5], 4
	s_add_u32 s14, s14, s2
	s_addc_u32 s15, s15, s3
	s_waitcnt lgkmcnt(0)
	v_mul_f64 v[8:9], s[16:17], s[16:17]
	v_max_f64 v[4:5], v[10:11], v[10:11]
	s_cmp_eq_u64 s[20:21], 0
	v_max_f64 v[4:5], v[4:5], v[8:9]
	s_cselect_b64 s[2:3], -1, 0
	s_cmp_lg_u64 s[20:21], 0
	v_cmp_nlt_f64_e32 vcc, 0, v[4:5]
	s_mov_b64 s[22:23], 0
	s_cselect_b64 s[18:19], -1, 0
	s_cbranch_vccz .LBB0_14
; %bb.12:
	v_mov_b32_e32 v3, 0x3ff00000
	v_mov_b32_e32 v4, v2
	;; [unrolled: 1-line block ×3, first 2 shown]
	ds_write_b128 v2, v[2:5]
	v_mov_b32_e32 v3, v2
	s_mov_b64 s[6:7], 0
	s_and_b64 vcc, exec, s[18:19]
	global_store_dwordx4 v2, v[2:5], s[14:15]
                                        ; implicit-def: $vgpr4_vgpr5
	s_cbranch_vccz .LBB0_15
; %bb.13:
	v_mov_b32_e32 v1, 0
	global_load_dwordx2 v[2:3], v1, s[8:9]
	s_mov_b64 s[4:5], -1
	s_and_b64 vcc, exec, s[6:7]
	s_cbranch_vccnz .LBB0_16
	s_branch .LBB0_17
.LBB0_14:
	s_mov_b64 s[6:7], -1
.LBB0_15:
	s_mov_b64 s[4:5], 0
                                        ; implicit-def: $vgpr2_vgpr3
	s_and_b64 vcc, exec, s[6:7]
	s_cbranch_vccz .LBB0_17
.LBB0_16:
	v_mov_b32_e32 v1, 0
	global_load_dwordx2 v[4:5], v1, s[8:9]
	s_mov_b32 s4, 0
	s_brev_b32 s5, 8
	v_mov_b32_e32 v7, 0x260
	s_mov_b64 s[22:23], s[2:3]
	s_waitcnt vmcnt(0)
	v_fma_f64 v[2:3], v[4:5], v[4:5], v[8:9]
	v_add_f64 v[2:3], v[10:11], v[2:3]
	v_cmp_gt_f64_e32 vcc, s[4:5], v[2:3]
	s_and_b64 s[4:5], vcc, exec
	s_cselect_b32 s4, 0x100, 0
	v_ldexp_f64 v[2:3], v[2:3], s4
	v_rsq_f64_e32 v[10:11], v[2:3]
	s_cselect_b32 s2, 0xffffff80, 0
	v_cmp_class_f64_e32 vcc, v[2:3], v7
	v_mul_f64 v[12:13], v[2:3], v[10:11]
	v_mul_f64 v[10:11], v[10:11], 0.5
	v_fma_f64 v[14:15], -v[10:11], v[12:13], 0.5
	v_fmac_f64_e32 v[12:13], v[12:13], v[14:15]
	v_fmac_f64_e32 v[10:11], v[10:11], v[14:15]
	v_fma_f64 v[14:15], -v[12:13], v[12:13], v[2:3]
	v_fmac_f64_e32 v[12:13], v[14:15], v[10:11]
	v_fma_f64 v[14:15], -v[12:13], v[12:13], v[2:3]
	v_fmac_f64_e32 v[12:13], v[14:15], v[10:11]
	v_ldexp_f64 v[10:11], v[12:13], s2
	v_cndmask_b32_e32 v3, v11, v3, vcc
	v_cndmask_b32_e32 v2, v10, v2, vcc
	v_xor_b32_e32 v7, 0x80000000, v3
	v_cmp_le_f64_e32 vcc, 0, v[4:5]
	s_nop 1
	v_cndmask_b32_e32 v3, v3, v7, vcc
	v_add_f64 v[10:11], v[4:5], -v[2:3]
	v_add_f64 v[4:5], v[2:3], -v[4:5]
	v_div_scale_f64 v[12:13], s[2:3], v[2:3], v[2:3], -s[16:17]
	v_fmac_f64_e32 v[8:9], v[10:11], v[10:11]
	v_div_scale_f64 v[16:17], s[4:5], v[2:3], v[2:3], v[4:5]
	v_rcp_f64_e32 v[20:21], v[12:13]
	v_div_scale_f64 v[22:23], s[6:7], v[8:9], v[8:9], v[10:11]
	v_div_scale_f64 v[26:27], s[6:7], v[8:9], v[8:9], -s[16:17]
	v_rcp_f64_e32 v[30:31], v[16:17]
	v_rcp_f64_e32 v[32:33], v[22:23]
	;; [unrolled: 1-line block ×3, first 2 shown]
	v_fma_f64 v[36:37], -v[12:13], v[20:21], 1.0
	v_fma_f64 v[38:39], -v[16:17], v[30:31], 1.0
	v_fmac_f64_e32 v[20:21], v[20:21], v[36:37]
	v_fma_f64 v[36:37], -v[22:23], v[32:33], 1.0
	v_fma_f64 v[40:41], -v[26:27], v[34:35], 1.0
	v_fmac_f64_e32 v[30:31], v[30:31], v[38:39]
	v_fma_f64 v[38:39], -v[12:13], v[20:21], 1.0
	v_fmac_f64_e32 v[32:33], v[32:33], v[36:37]
	v_div_scale_f64 v[14:15], s[2:3], -s[16:17], v[2:3], -s[16:17]
	v_fmac_f64_e32 v[34:35], v[34:35], v[40:41]
	v_fma_f64 v[36:37], -v[16:17], v[30:31], 1.0
	v_fmac_f64_e32 v[20:21], v[20:21], v[38:39]
	v_fma_f64 v[38:39], -v[22:23], v[32:33], 1.0
	v_div_scale_f64 v[18:19], s[4:5], v[4:5], v[2:3], v[4:5]
	v_div_scale_f64 v[24:25], vcc, v[10:11], v[8:9], v[10:11]
	v_fma_f64 v[40:41], -v[26:27], v[34:35], 1.0
	v_fmac_f64_e32 v[30:31], v[30:31], v[36:37]
	v_mul_f64 v[36:37], v[14:15], v[20:21]
	v_fmac_f64_e32 v[32:33], v[32:33], v[38:39]
	v_div_scale_f64 v[28:29], s[6:7], -s[16:17], v[8:9], -s[16:17]
	v_fmac_f64_e32 v[34:35], v[34:35], v[40:41]
	v_mul_f64 v[38:39], v[18:19], v[30:31]
	v_fma_f64 v[14:15], -v[12:13], v[36:37], v[14:15]
	v_mul_f64 v[12:13], v[24:25], v[32:33]
	v_mul_f64 v[40:41], v[28:29], v[34:35]
	v_fma_f64 v[16:17], -v[16:17], v[38:39], v[18:19]
	v_fma_f64 v[18:19], -v[22:23], v[12:13], v[24:25]
	;; [unrolled: 1-line block ×3, first 2 shown]
	v_div_fmas_f64 v[12:13], v[18:19], v[32:33], v[12:13]
	s_mov_b64 vcc, s[6:7]
	v_div_fixup_f64 v[10:11], v[12:13], v[8:9], v[10:11]
	v_div_fmas_f64 v[12:13], v[22:23], v[34:35], v[40:41]
	s_mov_b64 vcc, s[4:5]
	v_div_fixup_f64 v[12:13], v[12:13], v[8:9], -s[16:17]
	v_div_fmas_f64 v[8:9], v[16:17], v[30:31], v[38:39]
	s_mov_b64 vcc, s[2:3]
	v_div_fixup_f64 v[8:9], v[8:9], v[2:3], v[4:5]
	v_div_fmas_f64 v[4:5], v[14:15], v[20:21], v[36:37]
	ds_write_b128 v1, v[10:13]
	v_div_fixup_f64 v[10:11], v[4:5], v[2:3], -s[16:17]
	s_mov_b64 s[4:5], s[18:19]
	global_store_dwordx4 v1, v[8:11], s[14:15]
.LBB0_17:
	s_andn2_b64 vcc, exec, s[4:5]
	s_cbranch_vccz .LBB0_24
; %bb.18:
	s_andn2_b64 vcc, exec, s[22:23]
	s_cbranch_vccnz .LBB0_20
.LBB0_19:
	v_mov_b32_e32 v4, 0
	v_mov_b32_e32 v5, v4
	s_waitcnt vmcnt(0)
	global_store_dwordx4 v4, v[2:5], s[8:9]
.LBB0_20:
	s_or_b64 exec, exec, s[12:13]
	s_waitcnt lgkmcnt(0)
	; wave barrier
	s_and_saveexec_b64 s[2:3], s[0:1]
	s_cbranch_execz .LBB0_23
; %bb.21:
	v_mov_b32_e32 v1, 0
	s_waitcnt vmcnt(0)
	ds_read_b128 v[2:5], v1
	s_lshl_b32 s2, s25, 6
	s_mov_b64 s[0:1], 0
.LBB0_22:                               ; =>This Inner Loop Header: Depth=1
	v_ashrrev_i32_e32 v7, 31, v6
	v_lshl_add_u64 v[14:15], v[6:7], 4, s[10:11]
	global_load_dwordx4 v[8:11], v[14:15], off
	v_add_u32_e32 v0, 64, v0
	v_cmp_le_i32_e32 vcc, s24, v0
	s_or_b64 s[0:1], vcc, s[0:1]
	v_add_u32_e32 v6, s2, v6
	s_waitcnt vmcnt(0) lgkmcnt(0)
	v_mul_f64 v[16:17], v[4:5], v[10:11]
	v_mul_f64 v[12:13], v[2:3], v[10:11]
	v_fma_f64 v[10:11], v[2:3], v[8:9], -v[16:17]
	v_fmac_f64_e32 v[12:13], v[4:5], v[8:9]
	global_store_dwordx4 v[14:15], v[10:13], off
	s_andn2_b64 exec, exec, s[0:1]
	s_cbranch_execnz .LBB0_22
.LBB0_23:
	s_endpgm
.LBB0_24:
	v_mov_b32_e32 v1, 0
	s_waitcnt vmcnt(0)
	global_store_dwordx2 v1, v[2:3], s[20:21]
	v_mov_b64_e32 v[2:3], 1.0
	s_branch .LBB0_19
	.section	.rodata,"a",@progbits
	.p2align	6, 0x0
	.amdhsa_kernel _ZN9rocsolver6v33100L18larfg_kernel_smallILi64E19rocblas_complex_numIdEidPS3_EEvT1_T3_llPT2_llS6_lS5_lPT0_l
		.amdhsa_group_segment_fixed_size 16
		.amdhsa_private_segment_fixed_size 0
		.amdhsa_kernarg_size 104
		.amdhsa_user_sgpr_count 2
		.amdhsa_user_sgpr_dispatch_ptr 0
		.amdhsa_user_sgpr_queue_ptr 0
		.amdhsa_user_sgpr_kernarg_segment_ptr 1
		.amdhsa_user_sgpr_dispatch_id 0
		.amdhsa_user_sgpr_kernarg_preload_length 0
		.amdhsa_user_sgpr_kernarg_preload_offset 0
		.amdhsa_user_sgpr_private_segment_size 0
		.amdhsa_uses_dynamic_stack 0
		.amdhsa_enable_private_segment 0
		.amdhsa_system_sgpr_workgroup_id_x 1
		.amdhsa_system_sgpr_workgroup_id_y 0
		.amdhsa_system_sgpr_workgroup_id_z 1
		.amdhsa_system_sgpr_workgroup_info 0
		.amdhsa_system_vgpr_workitem_id 0
		.amdhsa_next_free_vgpr 42
		.amdhsa_next_free_sgpr 26
		.amdhsa_accum_offset 44
		.amdhsa_reserve_vcc 1
		.amdhsa_float_round_mode_32 0
		.amdhsa_float_round_mode_16_64 0
		.amdhsa_float_denorm_mode_32 3
		.amdhsa_float_denorm_mode_16_64 3
		.amdhsa_dx10_clamp 1
		.amdhsa_ieee_mode 1
		.amdhsa_fp16_overflow 0
		.amdhsa_tg_split 0
		.amdhsa_exception_fp_ieee_invalid_op 0
		.amdhsa_exception_fp_denorm_src 0
		.amdhsa_exception_fp_ieee_div_zero 0
		.amdhsa_exception_fp_ieee_overflow 0
		.amdhsa_exception_fp_ieee_underflow 0
		.amdhsa_exception_fp_ieee_inexact 0
		.amdhsa_exception_int_div_zero 0
	.end_amdhsa_kernel
	.section	.text._ZN9rocsolver6v33100L18larfg_kernel_smallILi64E19rocblas_complex_numIdEidPS3_EEvT1_T3_llPT2_llS6_lS5_lPT0_l,"axG",@progbits,_ZN9rocsolver6v33100L18larfg_kernel_smallILi64E19rocblas_complex_numIdEidPS3_EEvT1_T3_llPT2_llS6_lS5_lPT0_l,comdat
.Lfunc_end0:
	.size	_ZN9rocsolver6v33100L18larfg_kernel_smallILi64E19rocblas_complex_numIdEidPS3_EEvT1_T3_llPT2_llS6_lS5_lPT0_l, .Lfunc_end0-_ZN9rocsolver6v33100L18larfg_kernel_smallILi64E19rocblas_complex_numIdEidPS3_EEvT1_T3_llPT2_llS6_lS5_lPT0_l
                                        ; -- End function
	.set _ZN9rocsolver6v33100L18larfg_kernel_smallILi64E19rocblas_complex_numIdEidPS3_EEvT1_T3_llPT2_llS6_lS5_lPT0_l.num_vgpr, 42
	.set _ZN9rocsolver6v33100L18larfg_kernel_smallILi64E19rocblas_complex_numIdEidPS3_EEvT1_T3_llPT2_llS6_lS5_lPT0_l.num_agpr, 0
	.set _ZN9rocsolver6v33100L18larfg_kernel_smallILi64E19rocblas_complex_numIdEidPS3_EEvT1_T3_llPT2_llS6_lS5_lPT0_l.numbered_sgpr, 26
	.set _ZN9rocsolver6v33100L18larfg_kernel_smallILi64E19rocblas_complex_numIdEidPS3_EEvT1_T3_llPT2_llS6_lS5_lPT0_l.num_named_barrier, 0
	.set _ZN9rocsolver6v33100L18larfg_kernel_smallILi64E19rocblas_complex_numIdEidPS3_EEvT1_T3_llPT2_llS6_lS5_lPT0_l.private_seg_size, 0
	.set _ZN9rocsolver6v33100L18larfg_kernel_smallILi64E19rocblas_complex_numIdEidPS3_EEvT1_T3_llPT2_llS6_lS5_lPT0_l.uses_vcc, 1
	.set _ZN9rocsolver6v33100L18larfg_kernel_smallILi64E19rocblas_complex_numIdEidPS3_EEvT1_T3_llPT2_llS6_lS5_lPT0_l.uses_flat_scratch, 0
	.set _ZN9rocsolver6v33100L18larfg_kernel_smallILi64E19rocblas_complex_numIdEidPS3_EEvT1_T3_llPT2_llS6_lS5_lPT0_l.has_dyn_sized_stack, 0
	.set _ZN9rocsolver6v33100L18larfg_kernel_smallILi64E19rocblas_complex_numIdEidPS3_EEvT1_T3_llPT2_llS6_lS5_lPT0_l.has_recursion, 0
	.set _ZN9rocsolver6v33100L18larfg_kernel_smallILi64E19rocblas_complex_numIdEidPS3_EEvT1_T3_llPT2_llS6_lS5_lPT0_l.has_indirect_call, 0
	.section	.AMDGPU.csdata,"",@progbits
; Kernel info:
; codeLenInByte = 1836
; TotalNumSgprs: 32
; NumVgprs: 42
; NumAgprs: 0
; TotalNumVgprs: 42
; ScratchSize: 0
; MemoryBound: 0
; FloatMode: 240
; IeeeMode: 1
; LDSByteSize: 16 bytes/workgroup (compile time only)
; SGPRBlocks: 3
; VGPRBlocks: 5
; NumSGPRsForWavesPerEU: 32
; NumVGPRsForWavesPerEU: 42
; AccumOffset: 44
; Occupancy: 8
; WaveLimiterHint : 1
; COMPUTE_PGM_RSRC2:SCRATCH_EN: 0
; COMPUTE_PGM_RSRC2:USER_SGPR: 2
; COMPUTE_PGM_RSRC2:TRAP_HANDLER: 0
; COMPUTE_PGM_RSRC2:TGID_X_EN: 1
; COMPUTE_PGM_RSRC2:TGID_Y_EN: 0
; COMPUTE_PGM_RSRC2:TGID_Z_EN: 1
; COMPUTE_PGM_RSRC2:TIDIG_COMP_CNT: 0
; COMPUTE_PGM_RSRC3_GFX90A:ACCUM_OFFSET: 10
; COMPUTE_PGM_RSRC3_GFX90A:TG_SPLIT: 0
	.section	.text._ZN9rocsolver6v33100L18larfg_kernel_smallILi128E19rocblas_complex_numIdEidPS3_EEvT1_T3_llPT2_llS6_lS5_lPT0_l,"axG",@progbits,_ZN9rocsolver6v33100L18larfg_kernel_smallILi128E19rocblas_complex_numIdEidPS3_EEvT1_T3_llPT2_llS6_lS5_lPT0_l,comdat
	.globl	_ZN9rocsolver6v33100L18larfg_kernel_smallILi128E19rocblas_complex_numIdEidPS3_EEvT1_T3_llPT2_llS6_lS5_lPT0_l ; -- Begin function _ZN9rocsolver6v33100L18larfg_kernel_smallILi128E19rocblas_complex_numIdEidPS3_EEvT1_T3_llPT2_llS6_lS5_lPT0_l
	.p2align	8
	.type	_ZN9rocsolver6v33100L18larfg_kernel_smallILi128E19rocblas_complex_numIdEidPS3_EEvT1_T3_llPT2_llS6_lS5_lPT0_l,@function
_ZN9rocsolver6v33100L18larfg_kernel_smallILi128E19rocblas_complex_numIdEidPS3_EEvT1_T3_llPT2_llS6_lS5_lPT0_l: ; @_ZN9rocsolver6v33100L18larfg_kernel_smallILi128E19rocblas_complex_numIdEidPS3_EEvT1_T3_llPT2_llS6_lS5_lPT0_l
; %bb.0:
	s_load_dwordx16 s[4:19], s[0:1], 0x8
	s_ashr_i32 s2, s3, 31
	s_mov_b64 s[20:21], 0
	s_waitcnt lgkmcnt(0)
	s_cmp_eq_u64 s[10:11], 0
	s_cbranch_scc1 .LBB1_2
; %bb.1:
	s_mul_i32 s20, s14, s2
	s_mul_hi_u32 s21, s14, s3
	s_add_i32 s20, s21, s20
	s_mul_i32 s15, s15, s3
	s_add_i32 s15, s20, s15
	s_mul_i32 s14, s14, s3
	s_lshl_b64 s[14:15], s[14:15], 3
	s_add_u32 s14, s10, s14
	s_addc_u32 s15, s11, s15
	s_lshl_b64 s[10:11], s[12:13], 3
	s_add_u32 s20, s14, s10
	s_addc_u32 s21, s15, s11
.LBB1_2:
	s_load_dwordx4 s[12:15], s[0:1], 0x50
	s_load_dword s24, s[0:1], 0x0
	s_load_dword s25, s[0:1], 0x48
	s_load_dwordx2 s[22:23], s[0:1], 0x60
	v_mov_b64_e32 v[2:3], 0
	s_waitcnt lgkmcnt(0)
	s_mul_i32 s0, s12, s2
	s_mul_hi_u32 s1, s12, s3
	s_add_i32 s0, s1, s0
	s_mul_i32 s1, s13, s3
	s_add_i32 s1, s0, s1
	s_mul_i32 s0, s12, s3
	s_lshl_b64 s[0:1], s[0:1], 4
	s_add_u32 s10, s16, s0
	s_addc_u32 s11, s17, s1
	s_lshl_b64 s[0:1], s[18:19], 4
	s_add_u32 s10, s10, s0
	s_addc_u32 s11, s11, s1
	s_add_i32 s24, s24, -1
	v_cmp_gt_i32_e64 s[0:1], s24, v0
	v_mul_lo_u32 v6, v0, s25
	v_mov_b64_e32 v[4:5], 0
	s_and_saveexec_b64 s[12:13], s[0:1]
	s_cbranch_execz .LBB1_6
; %bb.3:
	v_mul_lo_u32 v8, v0, s25
	s_lshl_b32 s18, s25, 7
	v_mov_b64_e32 v[2:3], 0
	s_mov_b64 s[16:17], 0
	v_mov_b32_e32 v1, v0
	v_mov_b64_e32 v[4:5], 0
.LBB1_4:                                ; =>This Inner Loop Header: Depth=1
	v_ashrrev_i32_e32 v9, 31, v8
	v_lshl_add_u64 v[10:11], v[8:9], 4, s[10:11]
	global_load_dwordx4 v[10:13], v[10:11], off
	v_add_u32_e32 v1, 0x80, v1
	v_cmp_le_i32_e32 vcc, s24, v1
	s_or_b64 s[16:17], vcc, s[16:17]
	v_add_u32_e32 v8, s18, v8
	s_waitcnt vmcnt(0)
	v_mul_f64 v[14:15], v[12:13], v[12:13]
	v_mul_f64 v[16:17], v[10:11], v[12:13]
	v_fmac_f64_e32 v[14:15], v[10:11], v[10:11]
	v_fma_f64 v[10:11], v[10:11], v[12:13], -v[16:17]
	v_add_f64 v[4:5], v[4:5], v[14:15]
	v_add_f64 v[2:3], v[2:3], v[10:11]
	s_andn2_b64 exec, exec, s[16:17]
	s_cbranch_execnz .LBB1_4
; %bb.5:
	s_or_b64 exec, exec, s[16:17]
.LBB1_6:
	s_or_b64 exec, exec, s[12:13]
	v_mbcnt_lo_u32_b32 v1, -1, 0
	v_mbcnt_hi_u32_b32 v1, -1, v1
	v_and_b32_e32 v7, 63, v1
	v_cmp_ne_u32_e32 vcc, 63, v7
	s_nop 1
	v_addc_co_u32_e32 v8, vcc, 0, v1, vcc
	v_lshlrev_b32_e32 v11, 2, v8
	ds_bpermute_b32 v8, v11, v4
	ds_bpermute_b32 v9, v11, v5
	ds_bpermute_b32 v10, v11, v2
	ds_bpermute_b32 v11, v11, v3
	v_cmp_gt_u32_e32 vcc, 62, v7
	s_waitcnt lgkmcnt(2)
	v_add_f64 v[4:5], v[4:5], v[8:9]
	v_cndmask_b32_e64 v8, 0, 2, vcc
	s_waitcnt lgkmcnt(0)
	v_add_f64 v[2:3], v[2:3], v[10:11]
	v_add_lshl_u32 v11, v8, v1, 2
	ds_bpermute_b32 v8, v11, v4
	ds_bpermute_b32 v9, v11, v5
	ds_bpermute_b32 v10, v11, v2
	ds_bpermute_b32 v11, v11, v3
	v_cmp_gt_u32_e32 vcc, 60, v7
	s_waitcnt lgkmcnt(2)
	v_add_f64 v[4:5], v[4:5], v[8:9]
	v_cndmask_b32_e64 v8, 0, 4, vcc
	s_waitcnt lgkmcnt(0)
	v_add_f64 v[2:3], v[2:3], v[10:11]
	v_add_lshl_u32 v11, v8, v1, 2
	ds_bpermute_b32 v8, v11, v4
	ds_bpermute_b32 v9, v11, v5
	ds_bpermute_b32 v10, v11, v2
	ds_bpermute_b32 v11, v11, v3
	v_cmp_gt_u32_e32 vcc, 56, v7
	s_waitcnt lgkmcnt(2)
	v_add_f64 v[4:5], v[4:5], v[8:9]
	v_cndmask_b32_e64 v8, 0, 8, vcc
	s_waitcnt lgkmcnt(0)
	v_add_f64 v[2:3], v[2:3], v[10:11]
	v_add_lshl_u32 v11, v8, v1, 2
	ds_bpermute_b32 v8, v11, v4
	ds_bpermute_b32 v9, v11, v5
	ds_bpermute_b32 v10, v11, v2
	ds_bpermute_b32 v11, v11, v3
	v_cmp_gt_u32_e32 vcc, 48, v7
	s_waitcnt lgkmcnt(2)
	v_add_f64 v[4:5], v[4:5], v[8:9]
	v_cndmask_b32_e64 v7, 0, 16, vcc
	s_waitcnt lgkmcnt(0)
	v_add_f64 v[2:3], v[2:3], v[10:11]
	v_add_lshl_u32 v7, v7, v1, 2
	ds_bpermute_b32 v8, v7, v4
	ds_bpermute_b32 v9, v7, v5
	ds_bpermute_b32 v10, v7, v2
	ds_bpermute_b32 v11, v7, v3
	s_waitcnt lgkmcnt(2)
	v_add_f64 v[4:5], v[4:5], v[8:9]
	s_waitcnt lgkmcnt(0)
	v_add_f64 v[8:9], v[2:3], v[10:11]
	v_mov_b32_e32 v2, 0x80
	v_lshl_or_b32 v1, v1, 2, v2
	ds_bpermute_b32 v2, v1, v4
	ds_bpermute_b32 v3, v1, v5
	ds_bpermute_b32 v10, v1, v8
	ds_bpermute_b32 v11, v1, v9
	v_and_b32_e32 v1, 63, v0
	v_cmp_eq_u32_e32 vcc, 0, v1
	s_waitcnt lgkmcnt(2)
	v_add_f64 v[2:3], v[4:5], v[2:3]
	s_waitcnt lgkmcnt(0)
	v_add_f64 v[4:5], v[8:9], v[10:11]
	s_and_saveexec_b64 s[12:13], vcc
; %bb.7:
	v_lshrrev_b32_e32 v1, 2, v0
	ds_write_b128 v1, v[2:5]
; %bb.8:
	s_or_b64 exec, exec, s[12:13]
	v_cmp_eq_u32_e32 vcc, 0, v0
	s_waitcnt lgkmcnt(0)
	s_barrier
	s_and_saveexec_b64 s[12:13], vcc
	s_cbranch_execz .LBB1_10
; %bb.9:
	v_mov_b32_e32 v1, 0
	ds_read_b128 v[8:11], v1 offset:16
	s_waitcnt lgkmcnt(0)
	v_add_f64 v[4:5], v[4:5], v[10:11]
	v_add_f64 v[2:3], v[2:3], v[8:9]
	ds_write_b128 v1, v[2:5]
.LBB1_10:
	s_or_b64 exec, exec, s[12:13]
	s_waitcnt lgkmcnt(0)
	s_barrier
	s_and_saveexec_b64 s[12:13], vcc
	s_cbranch_execz .LBB1_20
; %bb.11:
	s_mul_i32 s16, s8, s2
	s_mul_hi_u32 s17, s8, s3
	s_add_i32 s16, s17, s16
	s_mul_i32 s9, s9, s3
	s_add_i32 s9, s16, s9
	s_mul_i32 s8, s8, s3
	s_lshl_b64 s[8:9], s[8:9], 4
	s_add_u32 s8, s4, s8
	s_addc_u32 s9, s5, s9
	s_lshl_b64 s[4:5], s[6:7], 4
	s_add_u32 s8, s8, s4
	s_addc_u32 s9, s9, s5
	v_mov_b32_e32 v2, 0
	s_mul_i32 s2, s22, s2
	s_mul_hi_u32 s4, s22, s3
	s_load_dwordx2 s[16:17], s[8:9], 0x8
	ds_read_b64 v[10:11], v2
	s_add_i32 s2, s4, s2
	s_mul_i32 s4, s23, s3
	s_add_i32 s5, s2, s4
	s_mul_i32 s4, s22, s3
	s_lshl_b64 s[2:3], s[4:5], 4
	s_add_u32 s14, s14, s2
	s_addc_u32 s15, s15, s3
	s_waitcnt lgkmcnt(0)
	v_mul_f64 v[8:9], s[16:17], s[16:17]
	v_max_f64 v[4:5], v[10:11], v[10:11]
	s_cmp_eq_u64 s[20:21], 0
	v_max_f64 v[4:5], v[4:5], v[8:9]
	s_cselect_b64 s[2:3], -1, 0
	s_cmp_lg_u64 s[20:21], 0
	v_cmp_nlt_f64_e32 vcc, 0, v[4:5]
	s_mov_b64 s[22:23], 0
	s_cselect_b64 s[18:19], -1, 0
	s_cbranch_vccz .LBB1_14
; %bb.12:
	v_mov_b32_e32 v3, 0x3ff00000
	v_mov_b32_e32 v4, v2
	;; [unrolled: 1-line block ×3, first 2 shown]
	ds_write_b128 v2, v[2:5]
	v_mov_b32_e32 v3, v2
	s_mov_b64 s[6:7], 0
	s_and_b64 vcc, exec, s[18:19]
	global_store_dwordx4 v2, v[2:5], s[14:15]
                                        ; implicit-def: $vgpr4_vgpr5
	s_cbranch_vccz .LBB1_15
; %bb.13:
	v_mov_b32_e32 v1, 0
	global_load_dwordx2 v[2:3], v1, s[8:9]
	s_mov_b64 s[4:5], -1
	s_and_b64 vcc, exec, s[6:7]
	s_cbranch_vccnz .LBB1_16
	s_branch .LBB1_17
.LBB1_14:
	s_mov_b64 s[6:7], -1
.LBB1_15:
	s_mov_b64 s[4:5], 0
                                        ; implicit-def: $vgpr2_vgpr3
	s_and_b64 vcc, exec, s[6:7]
	s_cbranch_vccz .LBB1_17
.LBB1_16:
	v_mov_b32_e32 v1, 0
	global_load_dwordx2 v[4:5], v1, s[8:9]
	s_mov_b32 s4, 0
	s_brev_b32 s5, 8
	v_mov_b32_e32 v7, 0x260
	s_mov_b64 s[22:23], s[2:3]
	s_waitcnt vmcnt(0)
	v_fma_f64 v[2:3], v[4:5], v[4:5], v[8:9]
	v_add_f64 v[2:3], v[10:11], v[2:3]
	v_cmp_gt_f64_e32 vcc, s[4:5], v[2:3]
	s_and_b64 s[4:5], vcc, exec
	s_cselect_b32 s4, 0x100, 0
	v_ldexp_f64 v[2:3], v[2:3], s4
	v_rsq_f64_e32 v[10:11], v[2:3]
	s_cselect_b32 s2, 0xffffff80, 0
	v_cmp_class_f64_e32 vcc, v[2:3], v7
	v_mul_f64 v[12:13], v[2:3], v[10:11]
	v_mul_f64 v[10:11], v[10:11], 0.5
	v_fma_f64 v[14:15], -v[10:11], v[12:13], 0.5
	v_fmac_f64_e32 v[12:13], v[12:13], v[14:15]
	v_fmac_f64_e32 v[10:11], v[10:11], v[14:15]
	v_fma_f64 v[14:15], -v[12:13], v[12:13], v[2:3]
	v_fmac_f64_e32 v[12:13], v[14:15], v[10:11]
	v_fma_f64 v[14:15], -v[12:13], v[12:13], v[2:3]
	v_fmac_f64_e32 v[12:13], v[14:15], v[10:11]
	v_ldexp_f64 v[10:11], v[12:13], s2
	v_cndmask_b32_e32 v3, v11, v3, vcc
	v_cndmask_b32_e32 v2, v10, v2, vcc
	v_xor_b32_e32 v7, 0x80000000, v3
	v_cmp_le_f64_e32 vcc, 0, v[4:5]
	s_nop 1
	v_cndmask_b32_e32 v3, v3, v7, vcc
	v_add_f64 v[10:11], v[4:5], -v[2:3]
	v_add_f64 v[4:5], v[2:3], -v[4:5]
	v_div_scale_f64 v[12:13], s[2:3], v[2:3], v[2:3], -s[16:17]
	v_fmac_f64_e32 v[8:9], v[10:11], v[10:11]
	v_div_scale_f64 v[16:17], s[4:5], v[2:3], v[2:3], v[4:5]
	v_rcp_f64_e32 v[20:21], v[12:13]
	v_div_scale_f64 v[22:23], s[6:7], v[8:9], v[8:9], v[10:11]
	v_div_scale_f64 v[26:27], s[6:7], v[8:9], v[8:9], -s[16:17]
	v_rcp_f64_e32 v[30:31], v[16:17]
	v_rcp_f64_e32 v[32:33], v[22:23]
	;; [unrolled: 1-line block ×3, first 2 shown]
	v_fma_f64 v[36:37], -v[12:13], v[20:21], 1.0
	v_fma_f64 v[38:39], -v[16:17], v[30:31], 1.0
	v_fmac_f64_e32 v[20:21], v[20:21], v[36:37]
	v_fma_f64 v[36:37], -v[22:23], v[32:33], 1.0
	v_fma_f64 v[40:41], -v[26:27], v[34:35], 1.0
	v_fmac_f64_e32 v[30:31], v[30:31], v[38:39]
	v_fma_f64 v[38:39], -v[12:13], v[20:21], 1.0
	v_fmac_f64_e32 v[32:33], v[32:33], v[36:37]
	v_div_scale_f64 v[14:15], s[2:3], -s[16:17], v[2:3], -s[16:17]
	v_fmac_f64_e32 v[34:35], v[34:35], v[40:41]
	v_fma_f64 v[36:37], -v[16:17], v[30:31], 1.0
	v_fmac_f64_e32 v[20:21], v[20:21], v[38:39]
	v_fma_f64 v[38:39], -v[22:23], v[32:33], 1.0
	v_div_scale_f64 v[18:19], s[4:5], v[4:5], v[2:3], v[4:5]
	v_div_scale_f64 v[24:25], vcc, v[10:11], v[8:9], v[10:11]
	v_fma_f64 v[40:41], -v[26:27], v[34:35], 1.0
	v_fmac_f64_e32 v[30:31], v[30:31], v[36:37]
	v_mul_f64 v[36:37], v[14:15], v[20:21]
	v_fmac_f64_e32 v[32:33], v[32:33], v[38:39]
	v_div_scale_f64 v[28:29], s[6:7], -s[16:17], v[8:9], -s[16:17]
	v_fmac_f64_e32 v[34:35], v[34:35], v[40:41]
	v_mul_f64 v[38:39], v[18:19], v[30:31]
	v_fma_f64 v[14:15], -v[12:13], v[36:37], v[14:15]
	v_mul_f64 v[12:13], v[24:25], v[32:33]
	v_mul_f64 v[40:41], v[28:29], v[34:35]
	v_fma_f64 v[16:17], -v[16:17], v[38:39], v[18:19]
	v_fma_f64 v[18:19], -v[22:23], v[12:13], v[24:25]
	;; [unrolled: 1-line block ×3, first 2 shown]
	v_div_fmas_f64 v[12:13], v[18:19], v[32:33], v[12:13]
	s_mov_b64 vcc, s[6:7]
	v_div_fixup_f64 v[10:11], v[12:13], v[8:9], v[10:11]
	v_div_fmas_f64 v[12:13], v[22:23], v[34:35], v[40:41]
	s_mov_b64 vcc, s[4:5]
	v_div_fixup_f64 v[12:13], v[12:13], v[8:9], -s[16:17]
	v_div_fmas_f64 v[8:9], v[16:17], v[30:31], v[38:39]
	s_mov_b64 vcc, s[2:3]
	v_div_fixup_f64 v[8:9], v[8:9], v[2:3], v[4:5]
	v_div_fmas_f64 v[4:5], v[14:15], v[20:21], v[36:37]
	ds_write_b128 v1, v[10:13]
	v_div_fixup_f64 v[10:11], v[4:5], v[2:3], -s[16:17]
	s_mov_b64 s[4:5], s[18:19]
	global_store_dwordx4 v1, v[8:11], s[14:15]
.LBB1_17:
	s_andn2_b64 vcc, exec, s[4:5]
	s_cbranch_vccz .LBB1_24
; %bb.18:
	s_andn2_b64 vcc, exec, s[22:23]
	s_cbranch_vccnz .LBB1_20
.LBB1_19:
	v_mov_b32_e32 v4, 0
	v_mov_b32_e32 v5, v4
	s_waitcnt vmcnt(0)
	global_store_dwordx4 v4, v[2:5], s[8:9]
.LBB1_20:
	s_or_b64 exec, exec, s[12:13]
	s_waitcnt lgkmcnt(0)
	s_barrier
	s_and_saveexec_b64 s[2:3], s[0:1]
	s_cbranch_execz .LBB1_23
; %bb.21:
	v_mov_b32_e32 v1, 0
	s_waitcnt vmcnt(0)
	ds_read_b128 v[2:5], v1
	s_lshl_b32 s2, s25, 7
	s_mov_b64 s[0:1], 0
.LBB1_22:                               ; =>This Inner Loop Header: Depth=1
	v_ashrrev_i32_e32 v7, 31, v6
	v_lshl_add_u64 v[14:15], v[6:7], 4, s[10:11]
	global_load_dwordx4 v[8:11], v[14:15], off
	v_add_u32_e32 v0, 0x80, v0
	v_cmp_le_i32_e32 vcc, s24, v0
	s_or_b64 s[0:1], vcc, s[0:1]
	v_add_u32_e32 v6, s2, v6
	s_waitcnt vmcnt(0) lgkmcnt(0)
	v_mul_f64 v[16:17], v[4:5], v[10:11]
	v_mul_f64 v[12:13], v[2:3], v[10:11]
	v_fma_f64 v[10:11], v[2:3], v[8:9], -v[16:17]
	v_fmac_f64_e32 v[12:13], v[4:5], v[8:9]
	global_store_dwordx4 v[14:15], v[10:13], off
	s_andn2_b64 exec, exec, s[0:1]
	s_cbranch_execnz .LBB1_22
.LBB1_23:
	s_endpgm
.LBB1_24:
	v_mov_b32_e32 v1, 0
	s_waitcnt vmcnt(0)
	global_store_dwordx2 v1, v[2:3], s[20:21]
	v_mov_b64_e32 v[2:3], 1.0
	s_branch .LBB1_19
	.section	.rodata,"a",@progbits
	.p2align	6, 0x0
	.amdhsa_kernel _ZN9rocsolver6v33100L18larfg_kernel_smallILi128E19rocblas_complex_numIdEidPS3_EEvT1_T3_llPT2_llS6_lS5_lPT0_l
		.amdhsa_group_segment_fixed_size 32
		.amdhsa_private_segment_fixed_size 0
		.amdhsa_kernarg_size 104
		.amdhsa_user_sgpr_count 2
		.amdhsa_user_sgpr_dispatch_ptr 0
		.amdhsa_user_sgpr_queue_ptr 0
		.amdhsa_user_sgpr_kernarg_segment_ptr 1
		.amdhsa_user_sgpr_dispatch_id 0
		.amdhsa_user_sgpr_kernarg_preload_length 0
		.amdhsa_user_sgpr_kernarg_preload_offset 0
		.amdhsa_user_sgpr_private_segment_size 0
		.amdhsa_uses_dynamic_stack 0
		.amdhsa_enable_private_segment 0
		.amdhsa_system_sgpr_workgroup_id_x 1
		.amdhsa_system_sgpr_workgroup_id_y 0
		.amdhsa_system_sgpr_workgroup_id_z 1
		.amdhsa_system_sgpr_workgroup_info 0
		.amdhsa_system_vgpr_workitem_id 0
		.amdhsa_next_free_vgpr 42
		.amdhsa_next_free_sgpr 26
		.amdhsa_accum_offset 44
		.amdhsa_reserve_vcc 1
		.amdhsa_float_round_mode_32 0
		.amdhsa_float_round_mode_16_64 0
		.amdhsa_float_denorm_mode_32 3
		.amdhsa_float_denorm_mode_16_64 3
		.amdhsa_dx10_clamp 1
		.amdhsa_ieee_mode 1
		.amdhsa_fp16_overflow 0
		.amdhsa_tg_split 0
		.amdhsa_exception_fp_ieee_invalid_op 0
		.amdhsa_exception_fp_denorm_src 0
		.amdhsa_exception_fp_ieee_div_zero 0
		.amdhsa_exception_fp_ieee_overflow 0
		.amdhsa_exception_fp_ieee_underflow 0
		.amdhsa_exception_fp_ieee_inexact 0
		.amdhsa_exception_int_div_zero 0
	.end_amdhsa_kernel
	.section	.text._ZN9rocsolver6v33100L18larfg_kernel_smallILi128E19rocblas_complex_numIdEidPS3_EEvT1_T3_llPT2_llS6_lS5_lPT0_l,"axG",@progbits,_ZN9rocsolver6v33100L18larfg_kernel_smallILi128E19rocblas_complex_numIdEidPS3_EEvT1_T3_llPT2_llS6_lS5_lPT0_l,comdat
.Lfunc_end1:
	.size	_ZN9rocsolver6v33100L18larfg_kernel_smallILi128E19rocblas_complex_numIdEidPS3_EEvT1_T3_llPT2_llS6_lS5_lPT0_l, .Lfunc_end1-_ZN9rocsolver6v33100L18larfg_kernel_smallILi128E19rocblas_complex_numIdEidPS3_EEvT1_T3_llPT2_llS6_lS5_lPT0_l
                                        ; -- End function
	.set _ZN9rocsolver6v33100L18larfg_kernel_smallILi128E19rocblas_complex_numIdEidPS3_EEvT1_T3_llPT2_llS6_lS5_lPT0_l.num_vgpr, 42
	.set _ZN9rocsolver6v33100L18larfg_kernel_smallILi128E19rocblas_complex_numIdEidPS3_EEvT1_T3_llPT2_llS6_lS5_lPT0_l.num_agpr, 0
	.set _ZN9rocsolver6v33100L18larfg_kernel_smallILi128E19rocblas_complex_numIdEidPS3_EEvT1_T3_llPT2_llS6_lS5_lPT0_l.numbered_sgpr, 26
	.set _ZN9rocsolver6v33100L18larfg_kernel_smallILi128E19rocblas_complex_numIdEidPS3_EEvT1_T3_llPT2_llS6_lS5_lPT0_l.num_named_barrier, 0
	.set _ZN9rocsolver6v33100L18larfg_kernel_smallILi128E19rocblas_complex_numIdEidPS3_EEvT1_T3_llPT2_llS6_lS5_lPT0_l.private_seg_size, 0
	.set _ZN9rocsolver6v33100L18larfg_kernel_smallILi128E19rocblas_complex_numIdEidPS3_EEvT1_T3_llPT2_llS6_lS5_lPT0_l.uses_vcc, 1
	.set _ZN9rocsolver6v33100L18larfg_kernel_smallILi128E19rocblas_complex_numIdEidPS3_EEvT1_T3_llPT2_llS6_lS5_lPT0_l.uses_flat_scratch, 0
	.set _ZN9rocsolver6v33100L18larfg_kernel_smallILi128E19rocblas_complex_numIdEidPS3_EEvT1_T3_llPT2_llS6_lS5_lPT0_l.has_dyn_sized_stack, 0
	.set _ZN9rocsolver6v33100L18larfg_kernel_smallILi128E19rocblas_complex_numIdEidPS3_EEvT1_T3_llPT2_llS6_lS5_lPT0_l.has_recursion, 0
	.set _ZN9rocsolver6v33100L18larfg_kernel_smallILi128E19rocblas_complex_numIdEidPS3_EEvT1_T3_llPT2_llS6_lS5_lPT0_l.has_indirect_call, 0
	.section	.AMDGPU.csdata,"",@progbits
; Kernel info:
; codeLenInByte = 1892
; TotalNumSgprs: 32
; NumVgprs: 42
; NumAgprs: 0
; TotalNumVgprs: 42
; ScratchSize: 0
; MemoryBound: 0
; FloatMode: 240
; IeeeMode: 1
; LDSByteSize: 32 bytes/workgroup (compile time only)
; SGPRBlocks: 3
; VGPRBlocks: 5
; NumSGPRsForWavesPerEU: 32
; NumVGPRsForWavesPerEU: 42
; AccumOffset: 44
; Occupancy: 8
; WaveLimiterHint : 1
; COMPUTE_PGM_RSRC2:SCRATCH_EN: 0
; COMPUTE_PGM_RSRC2:USER_SGPR: 2
; COMPUTE_PGM_RSRC2:TRAP_HANDLER: 0
; COMPUTE_PGM_RSRC2:TGID_X_EN: 1
; COMPUTE_PGM_RSRC2:TGID_Y_EN: 0
; COMPUTE_PGM_RSRC2:TGID_Z_EN: 1
; COMPUTE_PGM_RSRC2:TIDIG_COMP_CNT: 0
; COMPUTE_PGM_RSRC3_GFX90A:ACCUM_OFFSET: 10
; COMPUTE_PGM_RSRC3_GFX90A:TG_SPLIT: 0
	.section	.text._ZN9rocsolver6v33100L18larfg_kernel_smallILi256E19rocblas_complex_numIdEidPS3_EEvT1_T3_llPT2_llS6_lS5_lPT0_l,"axG",@progbits,_ZN9rocsolver6v33100L18larfg_kernel_smallILi256E19rocblas_complex_numIdEidPS3_EEvT1_T3_llPT2_llS6_lS5_lPT0_l,comdat
	.globl	_ZN9rocsolver6v33100L18larfg_kernel_smallILi256E19rocblas_complex_numIdEidPS3_EEvT1_T3_llPT2_llS6_lS5_lPT0_l ; -- Begin function _ZN9rocsolver6v33100L18larfg_kernel_smallILi256E19rocblas_complex_numIdEidPS3_EEvT1_T3_llPT2_llS6_lS5_lPT0_l
	.p2align	8
	.type	_ZN9rocsolver6v33100L18larfg_kernel_smallILi256E19rocblas_complex_numIdEidPS3_EEvT1_T3_llPT2_llS6_lS5_lPT0_l,@function
_ZN9rocsolver6v33100L18larfg_kernel_smallILi256E19rocblas_complex_numIdEidPS3_EEvT1_T3_llPT2_llS6_lS5_lPT0_l: ; @_ZN9rocsolver6v33100L18larfg_kernel_smallILi256E19rocblas_complex_numIdEidPS3_EEvT1_T3_llPT2_llS6_lS5_lPT0_l
; %bb.0:
	s_load_dwordx16 s[4:19], s[0:1], 0x8
	s_ashr_i32 s2, s3, 31
	s_mov_b64 s[20:21], 0
	s_waitcnt lgkmcnt(0)
	s_cmp_eq_u64 s[10:11], 0
	s_cbranch_scc1 .LBB2_2
; %bb.1:
	s_mul_i32 s20, s14, s2
	s_mul_hi_u32 s21, s14, s3
	s_add_i32 s20, s21, s20
	s_mul_i32 s15, s15, s3
	s_add_i32 s15, s20, s15
	s_mul_i32 s14, s14, s3
	s_lshl_b64 s[14:15], s[14:15], 3
	s_add_u32 s14, s10, s14
	s_addc_u32 s15, s11, s15
	s_lshl_b64 s[10:11], s[12:13], 3
	s_add_u32 s20, s14, s10
	s_addc_u32 s21, s15, s11
.LBB2_2:
	s_load_dwordx4 s[12:15], s[0:1], 0x50
	s_load_dword s24, s[0:1], 0x0
	s_load_dword s25, s[0:1], 0x48
	s_load_dwordx2 s[22:23], s[0:1], 0x60
	v_mov_b64_e32 v[2:3], 0
	s_waitcnt lgkmcnt(0)
	s_mul_i32 s0, s12, s2
	s_mul_hi_u32 s1, s12, s3
	s_add_i32 s0, s1, s0
	s_mul_i32 s1, s13, s3
	s_add_i32 s1, s0, s1
	s_mul_i32 s0, s12, s3
	s_lshl_b64 s[0:1], s[0:1], 4
	s_add_u32 s10, s16, s0
	s_addc_u32 s11, s17, s1
	s_lshl_b64 s[0:1], s[18:19], 4
	s_add_u32 s10, s10, s0
	s_addc_u32 s11, s11, s1
	s_add_i32 s24, s24, -1
	v_cmp_gt_i32_e64 s[0:1], s24, v0
	v_mul_lo_u32 v6, v0, s25
	v_mov_b64_e32 v[4:5], 0
	s_and_saveexec_b64 s[12:13], s[0:1]
	s_cbranch_execz .LBB2_6
; %bb.3:
	v_mul_lo_u32 v8, v0, s25
	s_lshl_b32 s18, s25, 8
	v_mov_b64_e32 v[2:3], 0
	s_mov_b64 s[16:17], 0
	v_mov_b32_e32 v1, v0
	v_mov_b64_e32 v[4:5], 0
.LBB2_4:                                ; =>This Inner Loop Header: Depth=1
	v_ashrrev_i32_e32 v9, 31, v8
	v_lshl_add_u64 v[10:11], v[8:9], 4, s[10:11]
	global_load_dwordx4 v[10:13], v[10:11], off
	v_add_u32_e32 v1, 0x100, v1
	v_cmp_le_i32_e32 vcc, s24, v1
	s_or_b64 s[16:17], vcc, s[16:17]
	v_add_u32_e32 v8, s18, v8
	s_waitcnt vmcnt(0)
	v_mul_f64 v[14:15], v[12:13], v[12:13]
	v_mul_f64 v[16:17], v[10:11], v[12:13]
	v_fmac_f64_e32 v[14:15], v[10:11], v[10:11]
	v_fma_f64 v[10:11], v[10:11], v[12:13], -v[16:17]
	v_add_f64 v[4:5], v[4:5], v[14:15]
	v_add_f64 v[2:3], v[2:3], v[10:11]
	s_andn2_b64 exec, exec, s[16:17]
	s_cbranch_execnz .LBB2_4
; %bb.5:
	s_or_b64 exec, exec, s[16:17]
.LBB2_6:
	s_or_b64 exec, exec, s[12:13]
	v_mbcnt_lo_u32_b32 v1, -1, 0
	v_mbcnt_hi_u32_b32 v1, -1, v1
	v_and_b32_e32 v7, 63, v1
	v_cmp_ne_u32_e32 vcc, 63, v7
	s_nop 1
	v_addc_co_u32_e32 v8, vcc, 0, v1, vcc
	v_lshlrev_b32_e32 v11, 2, v8
	ds_bpermute_b32 v8, v11, v4
	ds_bpermute_b32 v9, v11, v5
	ds_bpermute_b32 v10, v11, v2
	ds_bpermute_b32 v11, v11, v3
	v_cmp_gt_u32_e32 vcc, 62, v7
	s_waitcnt lgkmcnt(2)
	v_add_f64 v[4:5], v[4:5], v[8:9]
	v_cndmask_b32_e64 v8, 0, 2, vcc
	s_waitcnt lgkmcnt(0)
	v_add_f64 v[2:3], v[2:3], v[10:11]
	v_add_lshl_u32 v11, v8, v1, 2
	ds_bpermute_b32 v8, v11, v4
	ds_bpermute_b32 v9, v11, v5
	ds_bpermute_b32 v10, v11, v2
	ds_bpermute_b32 v11, v11, v3
	v_cmp_gt_u32_e32 vcc, 60, v7
	s_waitcnt lgkmcnt(2)
	v_add_f64 v[4:5], v[4:5], v[8:9]
	v_cndmask_b32_e64 v8, 0, 4, vcc
	s_waitcnt lgkmcnt(0)
	v_add_f64 v[2:3], v[2:3], v[10:11]
	v_add_lshl_u32 v11, v8, v1, 2
	;; [unrolled: 11-line block ×4, first 2 shown]
	ds_bpermute_b32 v8, v7, v4
	ds_bpermute_b32 v9, v7, v5
	ds_bpermute_b32 v10, v7, v2
	ds_bpermute_b32 v11, v7, v3
	s_waitcnt lgkmcnt(2)
	v_add_f64 v[4:5], v[4:5], v[8:9]
	s_waitcnt lgkmcnt(0)
	v_add_f64 v[8:9], v[2:3], v[10:11]
	v_mov_b32_e32 v2, 0x80
	v_lshl_or_b32 v1, v1, 2, v2
	ds_bpermute_b32 v2, v1, v4
	ds_bpermute_b32 v3, v1, v5
	;; [unrolled: 1-line block ×4, first 2 shown]
	v_and_b32_e32 v1, 63, v0
	v_cmp_eq_u32_e32 vcc, 0, v1
	s_waitcnt lgkmcnt(2)
	v_add_f64 v[2:3], v[4:5], v[2:3]
	s_waitcnt lgkmcnt(0)
	v_add_f64 v[4:5], v[8:9], v[10:11]
	s_and_saveexec_b64 s[12:13], vcc
; %bb.7:
	v_lshrrev_b32_e32 v1, 2, v0
	ds_write_b128 v1, v[2:5]
; %bb.8:
	s_or_b64 exec, exec, s[12:13]
	v_cmp_eq_u32_e32 vcc, 0, v0
	s_waitcnt lgkmcnt(0)
	s_barrier
	s_and_saveexec_b64 s[12:13], vcc
	s_cbranch_execz .LBB2_10
; %bb.9:
	v_mov_b32_e32 v1, 0
	ds_read_b128 v[8:11], v1 offset:16
	ds_read_b128 v[12:15], v1 offset:32
	;; [unrolled: 1-line block ×3, first 2 shown]
	s_waitcnt lgkmcnt(2)
	v_add_f64 v[2:3], v[2:3], v[8:9]
	v_add_f64 v[4:5], v[4:5], v[10:11]
	s_waitcnt lgkmcnt(1)
	v_add_f64 v[2:3], v[2:3], v[12:13]
	v_add_f64 v[4:5], v[4:5], v[14:15]
	s_waitcnt lgkmcnt(0)
	v_add_f64 v[2:3], v[2:3], v[16:17]
	v_add_f64 v[4:5], v[4:5], v[18:19]
	ds_write_b128 v1, v[2:5]
.LBB2_10:
	s_or_b64 exec, exec, s[12:13]
	s_waitcnt lgkmcnt(0)
	s_barrier
	s_and_saveexec_b64 s[12:13], vcc
	s_cbranch_execz .LBB2_20
; %bb.11:
	s_mul_i32 s16, s8, s2
	s_mul_hi_u32 s17, s8, s3
	s_add_i32 s16, s17, s16
	s_mul_i32 s9, s9, s3
	s_add_i32 s9, s16, s9
	s_mul_i32 s8, s8, s3
	s_lshl_b64 s[8:9], s[8:9], 4
	s_add_u32 s8, s4, s8
	s_addc_u32 s9, s5, s9
	s_lshl_b64 s[4:5], s[6:7], 4
	s_add_u32 s8, s8, s4
	s_addc_u32 s9, s9, s5
	v_mov_b32_e32 v2, 0
	s_mul_i32 s2, s22, s2
	s_mul_hi_u32 s4, s22, s3
	s_load_dwordx2 s[16:17], s[8:9], 0x8
	ds_read_b64 v[10:11], v2
	s_add_i32 s2, s4, s2
	s_mul_i32 s4, s23, s3
	s_add_i32 s5, s2, s4
	s_mul_i32 s4, s22, s3
	s_lshl_b64 s[2:3], s[4:5], 4
	s_add_u32 s14, s14, s2
	s_addc_u32 s15, s15, s3
	s_waitcnt lgkmcnt(0)
	v_mul_f64 v[8:9], s[16:17], s[16:17]
	v_max_f64 v[4:5], v[10:11], v[10:11]
	s_cmp_eq_u64 s[20:21], 0
	v_max_f64 v[4:5], v[4:5], v[8:9]
	s_cselect_b64 s[2:3], -1, 0
	s_cmp_lg_u64 s[20:21], 0
	v_cmp_nlt_f64_e32 vcc, 0, v[4:5]
	s_mov_b64 s[22:23], 0
	s_cselect_b64 s[18:19], -1, 0
	s_cbranch_vccz .LBB2_14
; %bb.12:
	v_mov_b32_e32 v3, 0x3ff00000
	v_mov_b32_e32 v4, v2
	;; [unrolled: 1-line block ×3, first 2 shown]
	ds_write_b128 v2, v[2:5]
	v_mov_b32_e32 v3, v2
	s_mov_b64 s[6:7], 0
	s_and_b64 vcc, exec, s[18:19]
	global_store_dwordx4 v2, v[2:5], s[14:15]
                                        ; implicit-def: $vgpr4_vgpr5
	s_cbranch_vccz .LBB2_15
; %bb.13:
	v_mov_b32_e32 v1, 0
	global_load_dwordx2 v[2:3], v1, s[8:9]
	s_mov_b64 s[4:5], -1
	s_and_b64 vcc, exec, s[6:7]
	s_cbranch_vccnz .LBB2_16
	s_branch .LBB2_17
.LBB2_14:
	s_mov_b64 s[6:7], -1
.LBB2_15:
	s_mov_b64 s[4:5], 0
                                        ; implicit-def: $vgpr2_vgpr3
	s_and_b64 vcc, exec, s[6:7]
	s_cbranch_vccz .LBB2_17
.LBB2_16:
	v_mov_b32_e32 v1, 0
	global_load_dwordx2 v[4:5], v1, s[8:9]
	s_mov_b32 s4, 0
	s_brev_b32 s5, 8
	v_mov_b32_e32 v7, 0x260
	s_mov_b64 s[22:23], s[2:3]
	s_waitcnt vmcnt(0)
	v_fma_f64 v[2:3], v[4:5], v[4:5], v[8:9]
	v_add_f64 v[2:3], v[10:11], v[2:3]
	v_cmp_gt_f64_e32 vcc, s[4:5], v[2:3]
	s_and_b64 s[4:5], vcc, exec
	s_cselect_b32 s4, 0x100, 0
	v_ldexp_f64 v[2:3], v[2:3], s4
	v_rsq_f64_e32 v[10:11], v[2:3]
	s_cselect_b32 s2, 0xffffff80, 0
	v_cmp_class_f64_e32 vcc, v[2:3], v7
	v_mul_f64 v[12:13], v[2:3], v[10:11]
	v_mul_f64 v[10:11], v[10:11], 0.5
	v_fma_f64 v[14:15], -v[10:11], v[12:13], 0.5
	v_fmac_f64_e32 v[12:13], v[12:13], v[14:15]
	v_fmac_f64_e32 v[10:11], v[10:11], v[14:15]
	v_fma_f64 v[14:15], -v[12:13], v[12:13], v[2:3]
	v_fmac_f64_e32 v[12:13], v[14:15], v[10:11]
	v_fma_f64 v[14:15], -v[12:13], v[12:13], v[2:3]
	v_fmac_f64_e32 v[12:13], v[14:15], v[10:11]
	v_ldexp_f64 v[10:11], v[12:13], s2
	v_cndmask_b32_e32 v3, v11, v3, vcc
	v_cndmask_b32_e32 v2, v10, v2, vcc
	v_xor_b32_e32 v7, 0x80000000, v3
	v_cmp_le_f64_e32 vcc, 0, v[4:5]
	s_nop 1
	v_cndmask_b32_e32 v3, v3, v7, vcc
	v_add_f64 v[10:11], v[4:5], -v[2:3]
	v_add_f64 v[4:5], v[2:3], -v[4:5]
	v_div_scale_f64 v[12:13], s[2:3], v[2:3], v[2:3], -s[16:17]
	v_fmac_f64_e32 v[8:9], v[10:11], v[10:11]
	v_div_scale_f64 v[16:17], s[4:5], v[2:3], v[2:3], v[4:5]
	v_rcp_f64_e32 v[20:21], v[12:13]
	v_div_scale_f64 v[22:23], s[6:7], v[8:9], v[8:9], v[10:11]
	v_div_scale_f64 v[26:27], s[6:7], v[8:9], v[8:9], -s[16:17]
	v_rcp_f64_e32 v[30:31], v[16:17]
	v_rcp_f64_e32 v[32:33], v[22:23]
	;; [unrolled: 1-line block ×3, first 2 shown]
	v_fma_f64 v[36:37], -v[12:13], v[20:21], 1.0
	v_fma_f64 v[38:39], -v[16:17], v[30:31], 1.0
	v_fmac_f64_e32 v[20:21], v[20:21], v[36:37]
	v_fma_f64 v[36:37], -v[22:23], v[32:33], 1.0
	v_fma_f64 v[40:41], -v[26:27], v[34:35], 1.0
	v_fmac_f64_e32 v[30:31], v[30:31], v[38:39]
	v_fma_f64 v[38:39], -v[12:13], v[20:21], 1.0
	v_fmac_f64_e32 v[32:33], v[32:33], v[36:37]
	v_div_scale_f64 v[14:15], s[2:3], -s[16:17], v[2:3], -s[16:17]
	v_fmac_f64_e32 v[34:35], v[34:35], v[40:41]
	v_fma_f64 v[36:37], -v[16:17], v[30:31], 1.0
	v_fmac_f64_e32 v[20:21], v[20:21], v[38:39]
	v_fma_f64 v[38:39], -v[22:23], v[32:33], 1.0
	v_div_scale_f64 v[18:19], s[4:5], v[4:5], v[2:3], v[4:5]
	v_div_scale_f64 v[24:25], vcc, v[10:11], v[8:9], v[10:11]
	v_fma_f64 v[40:41], -v[26:27], v[34:35], 1.0
	v_fmac_f64_e32 v[30:31], v[30:31], v[36:37]
	v_mul_f64 v[36:37], v[14:15], v[20:21]
	v_fmac_f64_e32 v[32:33], v[32:33], v[38:39]
	v_div_scale_f64 v[28:29], s[6:7], -s[16:17], v[8:9], -s[16:17]
	v_fmac_f64_e32 v[34:35], v[34:35], v[40:41]
	v_mul_f64 v[38:39], v[18:19], v[30:31]
	v_fma_f64 v[14:15], -v[12:13], v[36:37], v[14:15]
	v_mul_f64 v[12:13], v[24:25], v[32:33]
	v_mul_f64 v[40:41], v[28:29], v[34:35]
	v_fma_f64 v[16:17], -v[16:17], v[38:39], v[18:19]
	v_fma_f64 v[18:19], -v[22:23], v[12:13], v[24:25]
	v_fma_f64 v[22:23], -v[26:27], v[40:41], v[28:29]
	v_div_fmas_f64 v[12:13], v[18:19], v[32:33], v[12:13]
	s_mov_b64 vcc, s[6:7]
	v_div_fixup_f64 v[10:11], v[12:13], v[8:9], v[10:11]
	v_div_fmas_f64 v[12:13], v[22:23], v[34:35], v[40:41]
	s_mov_b64 vcc, s[4:5]
	v_div_fixup_f64 v[12:13], v[12:13], v[8:9], -s[16:17]
	v_div_fmas_f64 v[8:9], v[16:17], v[30:31], v[38:39]
	s_mov_b64 vcc, s[2:3]
	v_div_fixup_f64 v[8:9], v[8:9], v[2:3], v[4:5]
	v_div_fmas_f64 v[4:5], v[14:15], v[20:21], v[36:37]
	ds_write_b128 v1, v[10:13]
	v_div_fixup_f64 v[10:11], v[4:5], v[2:3], -s[16:17]
	s_mov_b64 s[4:5], s[18:19]
	global_store_dwordx4 v1, v[8:11], s[14:15]
.LBB2_17:
	s_andn2_b64 vcc, exec, s[4:5]
	s_cbranch_vccz .LBB2_24
; %bb.18:
	s_andn2_b64 vcc, exec, s[22:23]
	s_cbranch_vccnz .LBB2_20
.LBB2_19:
	v_mov_b32_e32 v4, 0
	v_mov_b32_e32 v5, v4
	s_waitcnt vmcnt(0)
	global_store_dwordx4 v4, v[2:5], s[8:9]
.LBB2_20:
	s_or_b64 exec, exec, s[12:13]
	s_waitcnt lgkmcnt(0)
	s_barrier
	s_and_saveexec_b64 s[2:3], s[0:1]
	s_cbranch_execz .LBB2_23
; %bb.21:
	v_mov_b32_e32 v1, 0
	s_waitcnt vmcnt(0)
	ds_read_b128 v[2:5], v1
	s_lshl_b32 s2, s25, 8
	s_mov_b64 s[0:1], 0
.LBB2_22:                               ; =>This Inner Loop Header: Depth=1
	v_ashrrev_i32_e32 v7, 31, v6
	v_lshl_add_u64 v[14:15], v[6:7], 4, s[10:11]
	global_load_dwordx4 v[8:11], v[14:15], off
	v_add_u32_e32 v0, 0x100, v0
	v_cmp_le_i32_e32 vcc, s24, v0
	s_or_b64 s[0:1], vcc, s[0:1]
	v_add_u32_e32 v6, s2, v6
	s_waitcnt vmcnt(0) lgkmcnt(0)
	v_mul_f64 v[16:17], v[4:5], v[10:11]
	v_mul_f64 v[12:13], v[2:3], v[10:11]
	v_fma_f64 v[10:11], v[2:3], v[8:9], -v[16:17]
	v_fmac_f64_e32 v[12:13], v[4:5], v[8:9]
	global_store_dwordx4 v[14:15], v[10:13], off
	s_andn2_b64 exec, exec, s[0:1]
	s_cbranch_execnz .LBB2_22
.LBB2_23:
	s_endpgm
.LBB2_24:
	v_mov_b32_e32 v1, 0
	s_waitcnt vmcnt(0)
	global_store_dwordx2 v1, v[2:3], s[20:21]
	v_mov_b64_e32 v[2:3], 1.0
	s_branch .LBB2_19
	.section	.rodata,"a",@progbits
	.p2align	6, 0x0
	.amdhsa_kernel _ZN9rocsolver6v33100L18larfg_kernel_smallILi256E19rocblas_complex_numIdEidPS3_EEvT1_T3_llPT2_llS6_lS5_lPT0_l
		.amdhsa_group_segment_fixed_size 64
		.amdhsa_private_segment_fixed_size 0
		.amdhsa_kernarg_size 104
		.amdhsa_user_sgpr_count 2
		.amdhsa_user_sgpr_dispatch_ptr 0
		.amdhsa_user_sgpr_queue_ptr 0
		.amdhsa_user_sgpr_kernarg_segment_ptr 1
		.amdhsa_user_sgpr_dispatch_id 0
		.amdhsa_user_sgpr_kernarg_preload_length 0
		.amdhsa_user_sgpr_kernarg_preload_offset 0
		.amdhsa_user_sgpr_private_segment_size 0
		.amdhsa_uses_dynamic_stack 0
		.amdhsa_enable_private_segment 0
		.amdhsa_system_sgpr_workgroup_id_x 1
		.amdhsa_system_sgpr_workgroup_id_y 0
		.amdhsa_system_sgpr_workgroup_id_z 1
		.amdhsa_system_sgpr_workgroup_info 0
		.amdhsa_system_vgpr_workitem_id 0
		.amdhsa_next_free_vgpr 42
		.amdhsa_next_free_sgpr 26
		.amdhsa_accum_offset 44
		.amdhsa_reserve_vcc 1
		.amdhsa_float_round_mode_32 0
		.amdhsa_float_round_mode_16_64 0
		.amdhsa_float_denorm_mode_32 3
		.amdhsa_float_denorm_mode_16_64 3
		.amdhsa_dx10_clamp 1
		.amdhsa_ieee_mode 1
		.amdhsa_fp16_overflow 0
		.amdhsa_tg_split 0
		.amdhsa_exception_fp_ieee_invalid_op 0
		.amdhsa_exception_fp_denorm_src 0
		.amdhsa_exception_fp_ieee_div_zero 0
		.amdhsa_exception_fp_ieee_overflow 0
		.amdhsa_exception_fp_ieee_underflow 0
		.amdhsa_exception_fp_ieee_inexact 0
		.amdhsa_exception_int_div_zero 0
	.end_amdhsa_kernel
	.section	.text._ZN9rocsolver6v33100L18larfg_kernel_smallILi256E19rocblas_complex_numIdEidPS3_EEvT1_T3_llPT2_llS6_lS5_lPT0_l,"axG",@progbits,_ZN9rocsolver6v33100L18larfg_kernel_smallILi256E19rocblas_complex_numIdEidPS3_EEvT1_T3_llPT2_llS6_lS5_lPT0_l,comdat
.Lfunc_end2:
	.size	_ZN9rocsolver6v33100L18larfg_kernel_smallILi256E19rocblas_complex_numIdEidPS3_EEvT1_T3_llPT2_llS6_lS5_lPT0_l, .Lfunc_end2-_ZN9rocsolver6v33100L18larfg_kernel_smallILi256E19rocblas_complex_numIdEidPS3_EEvT1_T3_llPT2_llS6_lS5_lPT0_l
                                        ; -- End function
	.set _ZN9rocsolver6v33100L18larfg_kernel_smallILi256E19rocblas_complex_numIdEidPS3_EEvT1_T3_llPT2_llS6_lS5_lPT0_l.num_vgpr, 42
	.set _ZN9rocsolver6v33100L18larfg_kernel_smallILi256E19rocblas_complex_numIdEidPS3_EEvT1_T3_llPT2_llS6_lS5_lPT0_l.num_agpr, 0
	.set _ZN9rocsolver6v33100L18larfg_kernel_smallILi256E19rocblas_complex_numIdEidPS3_EEvT1_T3_llPT2_llS6_lS5_lPT0_l.numbered_sgpr, 26
	.set _ZN9rocsolver6v33100L18larfg_kernel_smallILi256E19rocblas_complex_numIdEidPS3_EEvT1_T3_llPT2_llS6_lS5_lPT0_l.num_named_barrier, 0
	.set _ZN9rocsolver6v33100L18larfg_kernel_smallILi256E19rocblas_complex_numIdEidPS3_EEvT1_T3_llPT2_llS6_lS5_lPT0_l.private_seg_size, 0
	.set _ZN9rocsolver6v33100L18larfg_kernel_smallILi256E19rocblas_complex_numIdEidPS3_EEvT1_T3_llPT2_llS6_lS5_lPT0_l.uses_vcc, 1
	.set _ZN9rocsolver6v33100L18larfg_kernel_smallILi256E19rocblas_complex_numIdEidPS3_EEvT1_T3_llPT2_llS6_lS5_lPT0_l.uses_flat_scratch, 0
	.set _ZN9rocsolver6v33100L18larfg_kernel_smallILi256E19rocblas_complex_numIdEidPS3_EEvT1_T3_llPT2_llS6_lS5_lPT0_l.has_dyn_sized_stack, 0
	.set _ZN9rocsolver6v33100L18larfg_kernel_smallILi256E19rocblas_complex_numIdEidPS3_EEvT1_T3_llPT2_llS6_lS5_lPT0_l.has_recursion, 0
	.set _ZN9rocsolver6v33100L18larfg_kernel_smallILi256E19rocblas_complex_numIdEidPS3_EEvT1_T3_llPT2_llS6_lS5_lPT0_l.has_indirect_call, 0
	.section	.AMDGPU.csdata,"",@progbits
; Kernel info:
; codeLenInByte = 1948
; TotalNumSgprs: 32
; NumVgprs: 42
; NumAgprs: 0
; TotalNumVgprs: 42
; ScratchSize: 0
; MemoryBound: 0
; FloatMode: 240
; IeeeMode: 1
; LDSByteSize: 64 bytes/workgroup (compile time only)
; SGPRBlocks: 3
; VGPRBlocks: 5
; NumSGPRsForWavesPerEU: 32
; NumVGPRsForWavesPerEU: 42
; AccumOffset: 44
; Occupancy: 8
; WaveLimiterHint : 1
; COMPUTE_PGM_RSRC2:SCRATCH_EN: 0
; COMPUTE_PGM_RSRC2:USER_SGPR: 2
; COMPUTE_PGM_RSRC2:TRAP_HANDLER: 0
; COMPUTE_PGM_RSRC2:TGID_X_EN: 1
; COMPUTE_PGM_RSRC2:TGID_Y_EN: 0
; COMPUTE_PGM_RSRC2:TGID_Z_EN: 1
; COMPUTE_PGM_RSRC2:TIDIG_COMP_CNT: 0
; COMPUTE_PGM_RSRC3_GFX90A:ACCUM_OFFSET: 10
; COMPUTE_PGM_RSRC3_GFX90A:TG_SPLIT: 0
	.section	.text._ZN9rocsolver6v33100L18larfg_kernel_smallILi512E19rocblas_complex_numIdEidPS3_EEvT1_T3_llPT2_llS6_lS5_lPT0_l,"axG",@progbits,_ZN9rocsolver6v33100L18larfg_kernel_smallILi512E19rocblas_complex_numIdEidPS3_EEvT1_T3_llPT2_llS6_lS5_lPT0_l,comdat
	.globl	_ZN9rocsolver6v33100L18larfg_kernel_smallILi512E19rocblas_complex_numIdEidPS3_EEvT1_T3_llPT2_llS6_lS5_lPT0_l ; -- Begin function _ZN9rocsolver6v33100L18larfg_kernel_smallILi512E19rocblas_complex_numIdEidPS3_EEvT1_T3_llPT2_llS6_lS5_lPT0_l
	.p2align	8
	.type	_ZN9rocsolver6v33100L18larfg_kernel_smallILi512E19rocblas_complex_numIdEidPS3_EEvT1_T3_llPT2_llS6_lS5_lPT0_l,@function
_ZN9rocsolver6v33100L18larfg_kernel_smallILi512E19rocblas_complex_numIdEidPS3_EEvT1_T3_llPT2_llS6_lS5_lPT0_l: ; @_ZN9rocsolver6v33100L18larfg_kernel_smallILi512E19rocblas_complex_numIdEidPS3_EEvT1_T3_llPT2_llS6_lS5_lPT0_l
; %bb.0:
	s_load_dwordx16 s[4:19], s[0:1], 0x8
	s_ashr_i32 s2, s3, 31
	s_mov_b64 s[20:21], 0
	s_waitcnt lgkmcnt(0)
	s_cmp_eq_u64 s[10:11], 0
	s_cbranch_scc1 .LBB3_2
; %bb.1:
	s_mul_i32 s20, s14, s2
	s_mul_hi_u32 s21, s14, s3
	s_add_i32 s20, s21, s20
	s_mul_i32 s15, s15, s3
	s_add_i32 s15, s20, s15
	s_mul_i32 s14, s14, s3
	s_lshl_b64 s[14:15], s[14:15], 3
	s_add_u32 s14, s10, s14
	s_addc_u32 s15, s11, s15
	s_lshl_b64 s[10:11], s[12:13], 3
	s_add_u32 s20, s14, s10
	s_addc_u32 s21, s15, s11
.LBB3_2:
	s_load_dwordx4 s[12:15], s[0:1], 0x50
	s_load_dword s24, s[0:1], 0x0
	s_load_dword s25, s[0:1], 0x48
	s_load_dwordx2 s[22:23], s[0:1], 0x60
	v_mov_b64_e32 v[2:3], 0
	s_waitcnt lgkmcnt(0)
	s_mul_i32 s0, s12, s2
	s_mul_hi_u32 s1, s12, s3
	s_add_i32 s0, s1, s0
	s_mul_i32 s1, s13, s3
	s_add_i32 s1, s0, s1
	s_mul_i32 s0, s12, s3
	s_lshl_b64 s[0:1], s[0:1], 4
	s_add_u32 s10, s16, s0
	s_addc_u32 s11, s17, s1
	s_lshl_b64 s[0:1], s[18:19], 4
	s_add_u32 s10, s10, s0
	s_addc_u32 s11, s11, s1
	s_add_i32 s24, s24, -1
	v_cmp_gt_i32_e64 s[0:1], s24, v0
	v_mul_lo_u32 v6, v0, s25
	v_mov_b64_e32 v[4:5], 0
	s_and_saveexec_b64 s[12:13], s[0:1]
	s_cbranch_execz .LBB3_6
; %bb.3:
	v_mul_lo_u32 v8, v0, s25
	s_lshl_b32 s18, s25, 9
	v_mov_b64_e32 v[2:3], 0
	s_mov_b64 s[16:17], 0
	v_mov_b32_e32 v1, v0
	v_mov_b64_e32 v[4:5], 0
.LBB3_4:                                ; =>This Inner Loop Header: Depth=1
	v_ashrrev_i32_e32 v9, 31, v8
	v_lshl_add_u64 v[10:11], v[8:9], 4, s[10:11]
	global_load_dwordx4 v[10:13], v[10:11], off
	v_add_u32_e32 v1, 0x200, v1
	v_cmp_le_i32_e32 vcc, s24, v1
	s_or_b64 s[16:17], vcc, s[16:17]
	v_add_u32_e32 v8, s18, v8
	s_waitcnt vmcnt(0)
	v_mul_f64 v[14:15], v[12:13], v[12:13]
	v_mul_f64 v[16:17], v[10:11], v[12:13]
	v_fmac_f64_e32 v[14:15], v[10:11], v[10:11]
	v_fma_f64 v[10:11], v[10:11], v[12:13], -v[16:17]
	v_add_f64 v[4:5], v[4:5], v[14:15]
	v_add_f64 v[2:3], v[2:3], v[10:11]
	s_andn2_b64 exec, exec, s[16:17]
	s_cbranch_execnz .LBB3_4
; %bb.5:
	s_or_b64 exec, exec, s[16:17]
.LBB3_6:
	s_or_b64 exec, exec, s[12:13]
	v_mbcnt_lo_u32_b32 v1, -1, 0
	v_mbcnt_hi_u32_b32 v1, -1, v1
	v_and_b32_e32 v7, 63, v1
	v_cmp_ne_u32_e32 vcc, 63, v7
	s_nop 1
	v_addc_co_u32_e32 v8, vcc, 0, v1, vcc
	v_lshlrev_b32_e32 v11, 2, v8
	ds_bpermute_b32 v8, v11, v4
	ds_bpermute_b32 v9, v11, v5
	ds_bpermute_b32 v10, v11, v2
	ds_bpermute_b32 v11, v11, v3
	v_cmp_gt_u32_e32 vcc, 62, v7
	s_waitcnt lgkmcnt(2)
	v_add_f64 v[4:5], v[4:5], v[8:9]
	v_cndmask_b32_e64 v8, 0, 2, vcc
	s_waitcnt lgkmcnt(0)
	v_add_f64 v[2:3], v[2:3], v[10:11]
	v_add_lshl_u32 v11, v8, v1, 2
	ds_bpermute_b32 v8, v11, v4
	ds_bpermute_b32 v9, v11, v5
	ds_bpermute_b32 v10, v11, v2
	ds_bpermute_b32 v11, v11, v3
	v_cmp_gt_u32_e32 vcc, 60, v7
	s_waitcnt lgkmcnt(2)
	v_add_f64 v[4:5], v[4:5], v[8:9]
	v_cndmask_b32_e64 v8, 0, 4, vcc
	s_waitcnt lgkmcnt(0)
	v_add_f64 v[2:3], v[2:3], v[10:11]
	v_add_lshl_u32 v11, v8, v1, 2
	;; [unrolled: 11-line block ×4, first 2 shown]
	ds_bpermute_b32 v8, v7, v4
	ds_bpermute_b32 v9, v7, v5
	;; [unrolled: 1-line block ×4, first 2 shown]
	s_waitcnt lgkmcnt(2)
	v_add_f64 v[4:5], v[4:5], v[8:9]
	s_waitcnt lgkmcnt(0)
	v_add_f64 v[8:9], v[2:3], v[10:11]
	v_mov_b32_e32 v2, 0x80
	v_lshl_or_b32 v1, v1, 2, v2
	ds_bpermute_b32 v2, v1, v4
	ds_bpermute_b32 v3, v1, v5
	;; [unrolled: 1-line block ×4, first 2 shown]
	v_and_b32_e32 v1, 63, v0
	v_cmp_eq_u32_e32 vcc, 0, v1
	s_waitcnt lgkmcnt(2)
	v_add_f64 v[2:3], v[4:5], v[2:3]
	s_waitcnt lgkmcnt(0)
	v_add_f64 v[4:5], v[8:9], v[10:11]
	s_and_saveexec_b64 s[12:13], vcc
; %bb.7:
	v_lshrrev_b32_e32 v1, 2, v0
	ds_write_b128 v1, v[2:5]
; %bb.8:
	s_or_b64 exec, exec, s[12:13]
	v_cmp_eq_u32_e32 vcc, 0, v0
	s_waitcnt lgkmcnt(0)
	s_barrier
	s_and_saveexec_b64 s[12:13], vcc
	s_cbranch_execz .LBB3_10
; %bb.9:
	v_mov_b32_e32 v1, 0
	ds_read_b128 v[8:11], v1 offset:16
	ds_read_b128 v[12:15], v1 offset:32
	;; [unrolled: 1-line block ×4, first 2 shown]
	s_waitcnt lgkmcnt(3)
	v_add_f64 v[2:3], v[2:3], v[8:9]
	v_add_f64 v[4:5], v[4:5], v[10:11]
	s_waitcnt lgkmcnt(2)
	v_add_f64 v[2:3], v[2:3], v[12:13]
	v_add_f64 v[4:5], v[4:5], v[14:15]
	;; [unrolled: 3-line block ×3, first 2 shown]
	ds_read_b128 v[2:5], v1 offset:80
	s_waitcnt lgkmcnt(1)
	v_add_f64 v[16:17], v[8:9], v[20:21]
	ds_read_b128 v[8:11], v1 offset:96
	v_add_f64 v[18:19], v[12:13], v[22:23]
	ds_read_b128 v[12:15], v1 offset:112
	s_waitcnt lgkmcnt(2)
	v_add_f64 v[2:3], v[16:17], v[2:3]
	v_add_f64 v[4:5], v[18:19], v[4:5]
	s_waitcnt lgkmcnt(1)
	v_add_f64 v[2:3], v[2:3], v[8:9]
	v_add_f64 v[4:5], v[4:5], v[10:11]
	;; [unrolled: 3-line block ×3, first 2 shown]
	ds_write_b128 v1, v[2:5]
.LBB3_10:
	s_or_b64 exec, exec, s[12:13]
	s_waitcnt lgkmcnt(0)
	s_barrier
	s_and_saveexec_b64 s[12:13], vcc
	s_cbranch_execz .LBB3_20
; %bb.11:
	s_mul_i32 s16, s8, s2
	s_mul_hi_u32 s17, s8, s3
	s_add_i32 s16, s17, s16
	s_mul_i32 s9, s9, s3
	s_add_i32 s9, s16, s9
	s_mul_i32 s8, s8, s3
	s_lshl_b64 s[8:9], s[8:9], 4
	s_add_u32 s8, s4, s8
	s_addc_u32 s9, s5, s9
	s_lshl_b64 s[4:5], s[6:7], 4
	s_add_u32 s8, s8, s4
	s_addc_u32 s9, s9, s5
	v_mov_b32_e32 v2, 0
	s_mul_i32 s2, s22, s2
	s_mul_hi_u32 s4, s22, s3
	s_load_dwordx2 s[16:17], s[8:9], 0x8
	ds_read_b64 v[10:11], v2
	s_add_i32 s2, s4, s2
	s_mul_i32 s4, s23, s3
	s_add_i32 s5, s2, s4
	s_mul_i32 s4, s22, s3
	s_lshl_b64 s[2:3], s[4:5], 4
	s_add_u32 s14, s14, s2
	s_addc_u32 s15, s15, s3
	s_waitcnt lgkmcnt(0)
	v_mul_f64 v[8:9], s[16:17], s[16:17]
	v_max_f64 v[4:5], v[10:11], v[10:11]
	s_cmp_eq_u64 s[20:21], 0
	v_max_f64 v[4:5], v[4:5], v[8:9]
	s_cselect_b64 s[2:3], -1, 0
	s_cmp_lg_u64 s[20:21], 0
	v_cmp_nlt_f64_e32 vcc, 0, v[4:5]
	s_mov_b64 s[22:23], 0
	s_cselect_b64 s[18:19], -1, 0
	s_cbranch_vccz .LBB3_14
; %bb.12:
	v_mov_b32_e32 v3, 0x3ff00000
	v_mov_b32_e32 v4, v2
	;; [unrolled: 1-line block ×3, first 2 shown]
	ds_write_b128 v2, v[2:5]
	v_mov_b32_e32 v3, v2
	s_mov_b64 s[6:7], 0
	s_and_b64 vcc, exec, s[18:19]
	global_store_dwordx4 v2, v[2:5], s[14:15]
                                        ; implicit-def: $vgpr4_vgpr5
	s_cbranch_vccz .LBB3_15
; %bb.13:
	v_mov_b32_e32 v1, 0
	global_load_dwordx2 v[2:3], v1, s[8:9]
	s_mov_b64 s[4:5], -1
	s_and_b64 vcc, exec, s[6:7]
	s_cbranch_vccnz .LBB3_16
	s_branch .LBB3_17
.LBB3_14:
	s_mov_b64 s[6:7], -1
.LBB3_15:
	s_mov_b64 s[4:5], 0
                                        ; implicit-def: $vgpr2_vgpr3
	s_and_b64 vcc, exec, s[6:7]
	s_cbranch_vccz .LBB3_17
.LBB3_16:
	v_mov_b32_e32 v1, 0
	global_load_dwordx2 v[4:5], v1, s[8:9]
	s_mov_b32 s4, 0
	s_brev_b32 s5, 8
	v_mov_b32_e32 v7, 0x260
	s_mov_b64 s[22:23], s[2:3]
	s_waitcnt vmcnt(0)
	v_fma_f64 v[2:3], v[4:5], v[4:5], v[8:9]
	v_add_f64 v[2:3], v[10:11], v[2:3]
	v_cmp_gt_f64_e32 vcc, s[4:5], v[2:3]
	s_and_b64 s[4:5], vcc, exec
	s_cselect_b32 s4, 0x100, 0
	v_ldexp_f64 v[2:3], v[2:3], s4
	v_rsq_f64_e32 v[10:11], v[2:3]
	s_cselect_b32 s2, 0xffffff80, 0
	v_cmp_class_f64_e32 vcc, v[2:3], v7
	v_mul_f64 v[12:13], v[2:3], v[10:11]
	v_mul_f64 v[10:11], v[10:11], 0.5
	v_fma_f64 v[14:15], -v[10:11], v[12:13], 0.5
	v_fmac_f64_e32 v[12:13], v[12:13], v[14:15]
	v_fmac_f64_e32 v[10:11], v[10:11], v[14:15]
	v_fma_f64 v[14:15], -v[12:13], v[12:13], v[2:3]
	v_fmac_f64_e32 v[12:13], v[14:15], v[10:11]
	v_fma_f64 v[14:15], -v[12:13], v[12:13], v[2:3]
	v_fmac_f64_e32 v[12:13], v[14:15], v[10:11]
	v_ldexp_f64 v[10:11], v[12:13], s2
	v_cndmask_b32_e32 v3, v11, v3, vcc
	v_cndmask_b32_e32 v2, v10, v2, vcc
	v_xor_b32_e32 v7, 0x80000000, v3
	v_cmp_le_f64_e32 vcc, 0, v[4:5]
	s_nop 1
	v_cndmask_b32_e32 v3, v3, v7, vcc
	v_add_f64 v[10:11], v[4:5], -v[2:3]
	v_add_f64 v[4:5], v[2:3], -v[4:5]
	v_div_scale_f64 v[12:13], s[2:3], v[2:3], v[2:3], -s[16:17]
	v_fmac_f64_e32 v[8:9], v[10:11], v[10:11]
	v_div_scale_f64 v[16:17], s[4:5], v[2:3], v[2:3], v[4:5]
	v_rcp_f64_e32 v[20:21], v[12:13]
	v_div_scale_f64 v[22:23], s[6:7], v[8:9], v[8:9], v[10:11]
	v_div_scale_f64 v[26:27], s[6:7], v[8:9], v[8:9], -s[16:17]
	v_rcp_f64_e32 v[30:31], v[16:17]
	v_rcp_f64_e32 v[32:33], v[22:23]
	;; [unrolled: 1-line block ×3, first 2 shown]
	v_fma_f64 v[36:37], -v[12:13], v[20:21], 1.0
	v_fma_f64 v[38:39], -v[16:17], v[30:31], 1.0
	v_fmac_f64_e32 v[20:21], v[20:21], v[36:37]
	v_fma_f64 v[36:37], -v[22:23], v[32:33], 1.0
	v_fma_f64 v[40:41], -v[26:27], v[34:35], 1.0
	v_fmac_f64_e32 v[30:31], v[30:31], v[38:39]
	v_fma_f64 v[38:39], -v[12:13], v[20:21], 1.0
	v_fmac_f64_e32 v[32:33], v[32:33], v[36:37]
	v_div_scale_f64 v[14:15], s[2:3], -s[16:17], v[2:3], -s[16:17]
	v_fmac_f64_e32 v[34:35], v[34:35], v[40:41]
	v_fma_f64 v[36:37], -v[16:17], v[30:31], 1.0
	v_fmac_f64_e32 v[20:21], v[20:21], v[38:39]
	v_fma_f64 v[38:39], -v[22:23], v[32:33], 1.0
	v_div_scale_f64 v[18:19], s[4:5], v[4:5], v[2:3], v[4:5]
	v_div_scale_f64 v[24:25], vcc, v[10:11], v[8:9], v[10:11]
	v_fma_f64 v[40:41], -v[26:27], v[34:35], 1.0
	v_fmac_f64_e32 v[30:31], v[30:31], v[36:37]
	v_mul_f64 v[36:37], v[14:15], v[20:21]
	v_fmac_f64_e32 v[32:33], v[32:33], v[38:39]
	v_div_scale_f64 v[28:29], s[6:7], -s[16:17], v[8:9], -s[16:17]
	v_fmac_f64_e32 v[34:35], v[34:35], v[40:41]
	v_mul_f64 v[38:39], v[18:19], v[30:31]
	v_fma_f64 v[14:15], -v[12:13], v[36:37], v[14:15]
	v_mul_f64 v[12:13], v[24:25], v[32:33]
	v_mul_f64 v[40:41], v[28:29], v[34:35]
	v_fma_f64 v[16:17], -v[16:17], v[38:39], v[18:19]
	v_fma_f64 v[18:19], -v[22:23], v[12:13], v[24:25]
	;; [unrolled: 1-line block ×3, first 2 shown]
	v_div_fmas_f64 v[12:13], v[18:19], v[32:33], v[12:13]
	s_mov_b64 vcc, s[6:7]
	v_div_fixup_f64 v[10:11], v[12:13], v[8:9], v[10:11]
	v_div_fmas_f64 v[12:13], v[22:23], v[34:35], v[40:41]
	s_mov_b64 vcc, s[4:5]
	v_div_fixup_f64 v[12:13], v[12:13], v[8:9], -s[16:17]
	v_div_fmas_f64 v[8:9], v[16:17], v[30:31], v[38:39]
	s_mov_b64 vcc, s[2:3]
	v_div_fixup_f64 v[8:9], v[8:9], v[2:3], v[4:5]
	v_div_fmas_f64 v[4:5], v[14:15], v[20:21], v[36:37]
	ds_write_b128 v1, v[10:13]
	v_div_fixup_f64 v[10:11], v[4:5], v[2:3], -s[16:17]
	s_mov_b64 s[4:5], s[18:19]
	global_store_dwordx4 v1, v[8:11], s[14:15]
.LBB3_17:
	s_andn2_b64 vcc, exec, s[4:5]
	s_cbranch_vccz .LBB3_24
; %bb.18:
	s_andn2_b64 vcc, exec, s[22:23]
	s_cbranch_vccnz .LBB3_20
.LBB3_19:
	v_mov_b32_e32 v4, 0
	v_mov_b32_e32 v5, v4
	s_waitcnt vmcnt(0)
	global_store_dwordx4 v4, v[2:5], s[8:9]
.LBB3_20:
	s_or_b64 exec, exec, s[12:13]
	s_waitcnt lgkmcnt(0)
	s_barrier
	s_and_saveexec_b64 s[2:3], s[0:1]
	s_cbranch_execz .LBB3_23
; %bb.21:
	v_mov_b32_e32 v1, 0
	s_waitcnt vmcnt(0)
	ds_read_b128 v[2:5], v1
	s_lshl_b32 s2, s25, 9
	s_mov_b64 s[0:1], 0
.LBB3_22:                               ; =>This Inner Loop Header: Depth=1
	v_ashrrev_i32_e32 v7, 31, v6
	v_lshl_add_u64 v[14:15], v[6:7], 4, s[10:11]
	global_load_dwordx4 v[8:11], v[14:15], off
	v_add_u32_e32 v0, 0x200, v0
	v_cmp_le_i32_e32 vcc, s24, v0
	s_or_b64 s[0:1], vcc, s[0:1]
	v_add_u32_e32 v6, s2, v6
	s_waitcnt vmcnt(0) lgkmcnt(0)
	v_mul_f64 v[16:17], v[4:5], v[10:11]
	v_mul_f64 v[12:13], v[2:3], v[10:11]
	v_fma_f64 v[10:11], v[2:3], v[8:9], -v[16:17]
	v_fmac_f64_e32 v[12:13], v[4:5], v[8:9]
	global_store_dwordx4 v[14:15], v[10:13], off
	s_andn2_b64 exec, exec, s[0:1]
	s_cbranch_execnz .LBB3_22
.LBB3_23:
	s_endpgm
.LBB3_24:
	v_mov_b32_e32 v1, 0
	s_waitcnt vmcnt(0)
	global_store_dwordx2 v1, v[2:3], s[20:21]
	v_mov_b64_e32 v[2:3], 1.0
	s_branch .LBB3_19
	.section	.rodata,"a",@progbits
	.p2align	6, 0x0
	.amdhsa_kernel _ZN9rocsolver6v33100L18larfg_kernel_smallILi512E19rocblas_complex_numIdEidPS3_EEvT1_T3_llPT2_llS6_lS5_lPT0_l
		.amdhsa_group_segment_fixed_size 128
		.amdhsa_private_segment_fixed_size 0
		.amdhsa_kernarg_size 104
		.amdhsa_user_sgpr_count 2
		.amdhsa_user_sgpr_dispatch_ptr 0
		.amdhsa_user_sgpr_queue_ptr 0
		.amdhsa_user_sgpr_kernarg_segment_ptr 1
		.amdhsa_user_sgpr_dispatch_id 0
		.amdhsa_user_sgpr_kernarg_preload_length 0
		.amdhsa_user_sgpr_kernarg_preload_offset 0
		.amdhsa_user_sgpr_private_segment_size 0
		.amdhsa_uses_dynamic_stack 0
		.amdhsa_enable_private_segment 0
		.amdhsa_system_sgpr_workgroup_id_x 1
		.amdhsa_system_sgpr_workgroup_id_y 0
		.amdhsa_system_sgpr_workgroup_id_z 1
		.amdhsa_system_sgpr_workgroup_info 0
		.amdhsa_system_vgpr_workitem_id 0
		.amdhsa_next_free_vgpr 42
		.amdhsa_next_free_sgpr 26
		.amdhsa_accum_offset 44
		.amdhsa_reserve_vcc 1
		.amdhsa_float_round_mode_32 0
		.amdhsa_float_round_mode_16_64 0
		.amdhsa_float_denorm_mode_32 3
		.amdhsa_float_denorm_mode_16_64 3
		.amdhsa_dx10_clamp 1
		.amdhsa_ieee_mode 1
		.amdhsa_fp16_overflow 0
		.amdhsa_tg_split 0
		.amdhsa_exception_fp_ieee_invalid_op 0
		.amdhsa_exception_fp_denorm_src 0
		.amdhsa_exception_fp_ieee_div_zero 0
		.amdhsa_exception_fp_ieee_overflow 0
		.amdhsa_exception_fp_ieee_underflow 0
		.amdhsa_exception_fp_ieee_inexact 0
		.amdhsa_exception_int_div_zero 0
	.end_amdhsa_kernel
	.section	.text._ZN9rocsolver6v33100L18larfg_kernel_smallILi512E19rocblas_complex_numIdEidPS3_EEvT1_T3_llPT2_llS6_lS5_lPT0_l,"axG",@progbits,_ZN9rocsolver6v33100L18larfg_kernel_smallILi512E19rocblas_complex_numIdEidPS3_EEvT1_T3_llPT2_llS6_lS5_lPT0_l,comdat
.Lfunc_end3:
	.size	_ZN9rocsolver6v33100L18larfg_kernel_smallILi512E19rocblas_complex_numIdEidPS3_EEvT1_T3_llPT2_llS6_lS5_lPT0_l, .Lfunc_end3-_ZN9rocsolver6v33100L18larfg_kernel_smallILi512E19rocblas_complex_numIdEidPS3_EEvT1_T3_llPT2_llS6_lS5_lPT0_l
                                        ; -- End function
	.set _ZN9rocsolver6v33100L18larfg_kernel_smallILi512E19rocblas_complex_numIdEidPS3_EEvT1_T3_llPT2_llS6_lS5_lPT0_l.num_vgpr, 42
	.set _ZN9rocsolver6v33100L18larfg_kernel_smallILi512E19rocblas_complex_numIdEidPS3_EEvT1_T3_llPT2_llS6_lS5_lPT0_l.num_agpr, 0
	.set _ZN9rocsolver6v33100L18larfg_kernel_smallILi512E19rocblas_complex_numIdEidPS3_EEvT1_T3_llPT2_llS6_lS5_lPT0_l.numbered_sgpr, 26
	.set _ZN9rocsolver6v33100L18larfg_kernel_smallILi512E19rocblas_complex_numIdEidPS3_EEvT1_T3_llPT2_llS6_lS5_lPT0_l.num_named_barrier, 0
	.set _ZN9rocsolver6v33100L18larfg_kernel_smallILi512E19rocblas_complex_numIdEidPS3_EEvT1_T3_llPT2_llS6_lS5_lPT0_l.private_seg_size, 0
	.set _ZN9rocsolver6v33100L18larfg_kernel_smallILi512E19rocblas_complex_numIdEidPS3_EEvT1_T3_llPT2_llS6_lS5_lPT0_l.uses_vcc, 1
	.set _ZN9rocsolver6v33100L18larfg_kernel_smallILi512E19rocblas_complex_numIdEidPS3_EEvT1_T3_llPT2_llS6_lS5_lPT0_l.uses_flat_scratch, 0
	.set _ZN9rocsolver6v33100L18larfg_kernel_smallILi512E19rocblas_complex_numIdEidPS3_EEvT1_T3_llPT2_llS6_lS5_lPT0_l.has_dyn_sized_stack, 0
	.set _ZN9rocsolver6v33100L18larfg_kernel_smallILi512E19rocblas_complex_numIdEidPS3_EEvT1_T3_llPT2_llS6_lS5_lPT0_l.has_recursion, 0
	.set _ZN9rocsolver6v33100L18larfg_kernel_smallILi512E19rocblas_complex_numIdEidPS3_EEvT1_T3_llPT2_llS6_lS5_lPT0_l.has_indirect_call, 0
	.section	.AMDGPU.csdata,"",@progbits
; Kernel info:
; codeLenInByte = 2060
; TotalNumSgprs: 32
; NumVgprs: 42
; NumAgprs: 0
; TotalNumVgprs: 42
; ScratchSize: 0
; MemoryBound: 0
; FloatMode: 240
; IeeeMode: 1
; LDSByteSize: 128 bytes/workgroup (compile time only)
; SGPRBlocks: 3
; VGPRBlocks: 5
; NumSGPRsForWavesPerEU: 32
; NumVGPRsForWavesPerEU: 42
; AccumOffset: 44
; Occupancy: 8
; WaveLimiterHint : 1
; COMPUTE_PGM_RSRC2:SCRATCH_EN: 0
; COMPUTE_PGM_RSRC2:USER_SGPR: 2
; COMPUTE_PGM_RSRC2:TRAP_HANDLER: 0
; COMPUTE_PGM_RSRC2:TGID_X_EN: 1
; COMPUTE_PGM_RSRC2:TGID_Y_EN: 0
; COMPUTE_PGM_RSRC2:TGID_Z_EN: 1
; COMPUTE_PGM_RSRC2:TIDIG_COMP_CNT: 0
; COMPUTE_PGM_RSRC3_GFX90A:ACCUM_OFFSET: 10
; COMPUTE_PGM_RSRC3_GFX90A:TG_SPLIT: 0
	.section	.text._ZN9rocsolver6v33100L18larfg_kernel_smallILi1024E19rocblas_complex_numIdEidPS3_EEvT1_T3_llPT2_llS6_lS5_lPT0_l,"axG",@progbits,_ZN9rocsolver6v33100L18larfg_kernel_smallILi1024E19rocblas_complex_numIdEidPS3_EEvT1_T3_llPT2_llS6_lS5_lPT0_l,comdat
	.globl	_ZN9rocsolver6v33100L18larfg_kernel_smallILi1024E19rocblas_complex_numIdEidPS3_EEvT1_T3_llPT2_llS6_lS5_lPT0_l ; -- Begin function _ZN9rocsolver6v33100L18larfg_kernel_smallILi1024E19rocblas_complex_numIdEidPS3_EEvT1_T3_llPT2_llS6_lS5_lPT0_l
	.p2align	8
	.type	_ZN9rocsolver6v33100L18larfg_kernel_smallILi1024E19rocblas_complex_numIdEidPS3_EEvT1_T3_llPT2_llS6_lS5_lPT0_l,@function
_ZN9rocsolver6v33100L18larfg_kernel_smallILi1024E19rocblas_complex_numIdEidPS3_EEvT1_T3_llPT2_llS6_lS5_lPT0_l: ; @_ZN9rocsolver6v33100L18larfg_kernel_smallILi1024E19rocblas_complex_numIdEidPS3_EEvT1_T3_llPT2_llS6_lS5_lPT0_l
; %bb.0:
	s_load_dwordx16 s[4:19], s[0:1], 0x8
	s_ashr_i32 s2, s3, 31
	s_mov_b64 s[20:21], 0
	s_waitcnt lgkmcnt(0)
	s_cmp_eq_u64 s[10:11], 0
	s_cbranch_scc1 .LBB4_2
; %bb.1:
	s_mul_i32 s20, s14, s2
	s_mul_hi_u32 s21, s14, s3
	s_add_i32 s20, s21, s20
	s_mul_i32 s15, s15, s3
	s_add_i32 s15, s20, s15
	s_mul_i32 s14, s14, s3
	s_lshl_b64 s[14:15], s[14:15], 3
	s_add_u32 s14, s10, s14
	s_addc_u32 s15, s11, s15
	s_lshl_b64 s[10:11], s[12:13], 3
	s_add_u32 s20, s14, s10
	s_addc_u32 s21, s15, s11
.LBB4_2:
	s_load_dwordx4 s[12:15], s[0:1], 0x50
	s_load_dword s24, s[0:1], 0x0
	s_load_dword s25, s[0:1], 0x48
	s_load_dwordx2 s[22:23], s[0:1], 0x60
	v_mov_b64_e32 v[2:3], 0
	s_waitcnt lgkmcnt(0)
	s_mul_i32 s0, s12, s2
	s_mul_hi_u32 s1, s12, s3
	s_add_i32 s0, s1, s0
	s_mul_i32 s1, s13, s3
	s_add_i32 s1, s0, s1
	s_mul_i32 s0, s12, s3
	s_lshl_b64 s[0:1], s[0:1], 4
	s_add_u32 s10, s16, s0
	s_addc_u32 s11, s17, s1
	s_lshl_b64 s[0:1], s[18:19], 4
	s_add_u32 s10, s10, s0
	s_addc_u32 s11, s11, s1
	s_add_i32 s24, s24, -1
	v_cmp_gt_i32_e64 s[0:1], s24, v0
	v_mul_lo_u32 v6, v0, s25
	v_mov_b64_e32 v[4:5], 0
	s_and_saveexec_b64 s[12:13], s[0:1]
	s_cbranch_execz .LBB4_6
; %bb.3:
	v_mul_lo_u32 v8, v0, s25
	s_lshl_b32 s18, s25, 10
	v_mov_b64_e32 v[2:3], 0
	s_mov_b64 s[16:17], 0
	v_mov_b32_e32 v1, v0
	v_mov_b64_e32 v[4:5], 0
.LBB4_4:                                ; =>This Inner Loop Header: Depth=1
	v_ashrrev_i32_e32 v9, 31, v8
	v_lshl_add_u64 v[10:11], v[8:9], 4, s[10:11]
	global_load_dwordx4 v[10:13], v[10:11], off
	v_add_u32_e32 v1, 0x400, v1
	v_cmp_le_i32_e32 vcc, s24, v1
	s_or_b64 s[16:17], vcc, s[16:17]
	v_add_u32_e32 v8, s18, v8
	s_waitcnt vmcnt(0)
	v_mul_f64 v[14:15], v[12:13], v[12:13]
	v_mul_f64 v[16:17], v[10:11], v[12:13]
	v_fmac_f64_e32 v[14:15], v[10:11], v[10:11]
	v_fma_f64 v[10:11], v[10:11], v[12:13], -v[16:17]
	v_add_f64 v[4:5], v[4:5], v[14:15]
	v_add_f64 v[2:3], v[2:3], v[10:11]
	s_andn2_b64 exec, exec, s[16:17]
	s_cbranch_execnz .LBB4_4
; %bb.5:
	s_or_b64 exec, exec, s[16:17]
.LBB4_6:
	s_or_b64 exec, exec, s[12:13]
	v_mbcnt_lo_u32_b32 v1, -1, 0
	v_mbcnt_hi_u32_b32 v1, -1, v1
	v_and_b32_e32 v7, 63, v1
	v_cmp_ne_u32_e32 vcc, 63, v7
	s_nop 1
	v_addc_co_u32_e32 v8, vcc, 0, v1, vcc
	v_lshlrev_b32_e32 v11, 2, v8
	ds_bpermute_b32 v8, v11, v4
	ds_bpermute_b32 v9, v11, v5
	ds_bpermute_b32 v10, v11, v2
	ds_bpermute_b32 v11, v11, v3
	v_cmp_gt_u32_e32 vcc, 62, v7
	s_waitcnt lgkmcnt(2)
	v_add_f64 v[4:5], v[4:5], v[8:9]
	v_cndmask_b32_e64 v8, 0, 2, vcc
	s_waitcnt lgkmcnt(0)
	v_add_f64 v[2:3], v[2:3], v[10:11]
	v_add_lshl_u32 v11, v8, v1, 2
	ds_bpermute_b32 v8, v11, v4
	ds_bpermute_b32 v9, v11, v5
	ds_bpermute_b32 v10, v11, v2
	ds_bpermute_b32 v11, v11, v3
	v_cmp_gt_u32_e32 vcc, 60, v7
	s_waitcnt lgkmcnt(2)
	v_add_f64 v[4:5], v[4:5], v[8:9]
	v_cndmask_b32_e64 v8, 0, 4, vcc
	s_waitcnt lgkmcnt(0)
	v_add_f64 v[2:3], v[2:3], v[10:11]
	v_add_lshl_u32 v11, v8, v1, 2
	;; [unrolled: 11-line block ×4, first 2 shown]
	ds_bpermute_b32 v8, v7, v4
	ds_bpermute_b32 v9, v7, v5
	;; [unrolled: 1-line block ×4, first 2 shown]
	s_waitcnt lgkmcnt(2)
	v_add_f64 v[4:5], v[4:5], v[8:9]
	s_waitcnt lgkmcnt(0)
	v_add_f64 v[8:9], v[2:3], v[10:11]
	v_mov_b32_e32 v2, 0x80
	v_lshl_or_b32 v1, v1, 2, v2
	ds_bpermute_b32 v2, v1, v4
	ds_bpermute_b32 v3, v1, v5
	ds_bpermute_b32 v10, v1, v8
	ds_bpermute_b32 v11, v1, v9
	v_and_b32_e32 v1, 63, v0
	v_cmp_eq_u32_e32 vcc, 0, v1
	s_waitcnt lgkmcnt(2)
	v_add_f64 v[2:3], v[4:5], v[2:3]
	s_waitcnt lgkmcnt(0)
	v_add_f64 v[4:5], v[8:9], v[10:11]
	s_and_saveexec_b64 s[12:13], vcc
; %bb.7:
	v_lshrrev_b32_e32 v1, 2, v0
	ds_write_b128 v1, v[2:5]
; %bb.8:
	s_or_b64 exec, exec, s[12:13]
	v_cmp_eq_u32_e32 vcc, 0, v0
	s_waitcnt lgkmcnt(0)
	s_barrier
	s_and_saveexec_b64 s[12:13], vcc
	s_cbranch_execz .LBB4_10
; %bb.9:
	v_mov_b32_e32 v1, 0
	ds_read_b128 v[8:11], v1 offset:16
	ds_read_b128 v[12:15], v1 offset:32
	;; [unrolled: 1-line block ×4, first 2 shown]
	s_waitcnt lgkmcnt(3)
	v_add_f64 v[2:3], v[2:3], v[8:9]
	v_add_f64 v[4:5], v[4:5], v[10:11]
	s_waitcnt lgkmcnt(2)
	v_add_f64 v[2:3], v[2:3], v[12:13]
	v_add_f64 v[8:9], v[4:5], v[14:15]
	s_waitcnt lgkmcnt(1)
	v_add_f64 v[10:11], v[2:3], v[16:17]
	ds_read_b128 v[2:5], v1 offset:80
	v_add_f64 v[12:13], v[8:9], v[18:19]
	s_waitcnt lgkmcnt(1)
	v_add_f64 v[14:15], v[10:11], v[20:21]
	ds_read_b128 v[8:11], v1 offset:96
	v_add_f64 v[16:17], v[12:13], v[22:23]
	s_waitcnt lgkmcnt(1)
	v_add_f64 v[2:3], v[14:15], v[2:3]
	ds_read_b128 v[12:15], v1 offset:112
	v_add_f64 v[16:17], v[16:17], v[4:5]
	s_waitcnt lgkmcnt(1)
	v_add_f64 v[8:9], v[2:3], v[8:9]
	ds_read_b128 v[2:5], v1 offset:128
	v_add_f64 v[16:17], v[16:17], v[10:11]
	s_waitcnt lgkmcnt(1)
	v_add_f64 v[12:13], v[8:9], v[12:13]
	ds_read_b128 v[8:11], v1 offset:144
	v_add_f64 v[16:17], v[16:17], v[14:15]
	s_waitcnt lgkmcnt(1)
	v_add_f64 v[2:3], v[12:13], v[2:3]
	ds_read_b128 v[12:15], v1 offset:160
	v_add_f64 v[16:17], v[16:17], v[4:5]
	s_waitcnt lgkmcnt(1)
	v_add_f64 v[8:9], v[2:3], v[8:9]
	ds_read_b128 v[2:5], v1 offset:176
	v_add_f64 v[16:17], v[16:17], v[10:11]
	s_waitcnt lgkmcnt(1)
	v_add_f64 v[12:13], v[8:9], v[12:13]
	ds_read_b128 v[8:11], v1 offset:192
	v_add_f64 v[14:15], v[16:17], v[14:15]
	s_waitcnt lgkmcnt(1)
	v_add_f64 v[12:13], v[12:13], v[2:3]
	v_add_f64 v[16:17], v[14:15], v[4:5]
	ds_read_b128 v[2:5], v1 offset:208
	s_waitcnt lgkmcnt(1)
	v_add_f64 v[18:19], v[12:13], v[8:9]
	ds_read_b128 v[12:15], v1 offset:224
	v_add_f64 v[16:17], v[16:17], v[10:11]
	ds_read_b128 v[8:11], v1 offset:240
	s_waitcnt lgkmcnt(2)
	v_add_f64 v[2:3], v[18:19], v[2:3]
	v_add_f64 v[4:5], v[16:17], v[4:5]
	s_waitcnt lgkmcnt(1)
	v_add_f64 v[2:3], v[2:3], v[12:13]
	v_add_f64 v[4:5], v[4:5], v[14:15]
	;; [unrolled: 3-line block ×3, first 2 shown]
	ds_write_b128 v1, v[2:5]
.LBB4_10:
	s_or_b64 exec, exec, s[12:13]
	s_waitcnt lgkmcnt(0)
	s_barrier
	s_and_saveexec_b64 s[12:13], vcc
	s_cbranch_execz .LBB4_20
; %bb.11:
	s_mul_i32 s16, s8, s2
	s_mul_hi_u32 s17, s8, s3
	s_add_i32 s16, s17, s16
	s_mul_i32 s9, s9, s3
	s_add_i32 s9, s16, s9
	s_mul_i32 s8, s8, s3
	s_lshl_b64 s[8:9], s[8:9], 4
	s_add_u32 s8, s4, s8
	s_addc_u32 s9, s5, s9
	s_lshl_b64 s[4:5], s[6:7], 4
	s_add_u32 s8, s8, s4
	s_addc_u32 s9, s9, s5
	v_mov_b32_e32 v2, 0
	s_mul_i32 s2, s22, s2
	s_mul_hi_u32 s4, s22, s3
	s_load_dwordx2 s[16:17], s[8:9], 0x8
	ds_read_b64 v[10:11], v2
	s_add_i32 s2, s4, s2
	s_mul_i32 s4, s23, s3
	s_add_i32 s5, s2, s4
	s_mul_i32 s4, s22, s3
	s_lshl_b64 s[2:3], s[4:5], 4
	s_add_u32 s14, s14, s2
	s_addc_u32 s15, s15, s3
	s_waitcnt lgkmcnt(0)
	v_mul_f64 v[8:9], s[16:17], s[16:17]
	v_max_f64 v[4:5], v[10:11], v[10:11]
	s_cmp_eq_u64 s[20:21], 0
	v_max_f64 v[4:5], v[4:5], v[8:9]
	s_cselect_b64 s[2:3], -1, 0
	s_cmp_lg_u64 s[20:21], 0
	v_cmp_nlt_f64_e32 vcc, 0, v[4:5]
	s_mov_b64 s[22:23], 0
	s_cselect_b64 s[18:19], -1, 0
	s_cbranch_vccz .LBB4_14
; %bb.12:
	v_mov_b32_e32 v3, 0x3ff00000
	v_mov_b32_e32 v4, v2
	;; [unrolled: 1-line block ×3, first 2 shown]
	ds_write_b128 v2, v[2:5]
	v_mov_b32_e32 v3, v2
	s_mov_b64 s[6:7], 0
	s_and_b64 vcc, exec, s[18:19]
	global_store_dwordx4 v2, v[2:5], s[14:15]
                                        ; implicit-def: $vgpr4_vgpr5
	s_cbranch_vccz .LBB4_15
; %bb.13:
	v_mov_b32_e32 v1, 0
	global_load_dwordx2 v[2:3], v1, s[8:9]
	s_mov_b64 s[4:5], -1
	s_and_b64 vcc, exec, s[6:7]
	s_cbranch_vccnz .LBB4_16
	s_branch .LBB4_17
.LBB4_14:
	s_mov_b64 s[6:7], -1
.LBB4_15:
	s_mov_b64 s[4:5], 0
                                        ; implicit-def: $vgpr2_vgpr3
	s_and_b64 vcc, exec, s[6:7]
	s_cbranch_vccz .LBB4_17
.LBB4_16:
	v_mov_b32_e32 v1, 0
	global_load_dwordx2 v[4:5], v1, s[8:9]
	s_mov_b32 s4, 0
	s_brev_b32 s5, 8
	v_mov_b32_e32 v7, 0x260
	s_mov_b64 s[22:23], s[2:3]
	s_waitcnt vmcnt(0)
	v_fma_f64 v[2:3], v[4:5], v[4:5], v[8:9]
	v_add_f64 v[2:3], v[10:11], v[2:3]
	v_cmp_gt_f64_e32 vcc, s[4:5], v[2:3]
	s_and_b64 s[4:5], vcc, exec
	s_cselect_b32 s4, 0x100, 0
	v_ldexp_f64 v[2:3], v[2:3], s4
	v_rsq_f64_e32 v[10:11], v[2:3]
	s_cselect_b32 s2, 0xffffff80, 0
	v_cmp_class_f64_e32 vcc, v[2:3], v7
	v_mul_f64 v[12:13], v[2:3], v[10:11]
	v_mul_f64 v[10:11], v[10:11], 0.5
	v_fma_f64 v[14:15], -v[10:11], v[12:13], 0.5
	v_fmac_f64_e32 v[12:13], v[12:13], v[14:15]
	v_fmac_f64_e32 v[10:11], v[10:11], v[14:15]
	v_fma_f64 v[14:15], -v[12:13], v[12:13], v[2:3]
	v_fmac_f64_e32 v[12:13], v[14:15], v[10:11]
	v_fma_f64 v[14:15], -v[12:13], v[12:13], v[2:3]
	v_fmac_f64_e32 v[12:13], v[14:15], v[10:11]
	v_ldexp_f64 v[10:11], v[12:13], s2
	v_cndmask_b32_e32 v3, v11, v3, vcc
	v_cndmask_b32_e32 v2, v10, v2, vcc
	v_xor_b32_e32 v7, 0x80000000, v3
	v_cmp_le_f64_e32 vcc, 0, v[4:5]
	s_nop 1
	v_cndmask_b32_e32 v3, v3, v7, vcc
	v_add_f64 v[10:11], v[4:5], -v[2:3]
	v_add_f64 v[4:5], v[2:3], -v[4:5]
	v_div_scale_f64 v[12:13], s[2:3], v[2:3], v[2:3], -s[16:17]
	v_fmac_f64_e32 v[8:9], v[10:11], v[10:11]
	v_div_scale_f64 v[16:17], s[4:5], v[2:3], v[2:3], v[4:5]
	v_rcp_f64_e32 v[20:21], v[12:13]
	v_div_scale_f64 v[22:23], s[6:7], v[8:9], v[8:9], v[10:11]
	v_div_scale_f64 v[26:27], s[6:7], v[8:9], v[8:9], -s[16:17]
	v_rcp_f64_e32 v[30:31], v[16:17]
	v_rcp_f64_e32 v[32:33], v[22:23]
	;; [unrolled: 1-line block ×3, first 2 shown]
	v_fma_f64 v[36:37], -v[12:13], v[20:21], 1.0
	v_fma_f64 v[38:39], -v[16:17], v[30:31], 1.0
	v_fmac_f64_e32 v[20:21], v[20:21], v[36:37]
	v_fma_f64 v[36:37], -v[22:23], v[32:33], 1.0
	v_fma_f64 v[40:41], -v[26:27], v[34:35], 1.0
	v_fmac_f64_e32 v[30:31], v[30:31], v[38:39]
	v_fma_f64 v[38:39], -v[12:13], v[20:21], 1.0
	v_fmac_f64_e32 v[32:33], v[32:33], v[36:37]
	v_div_scale_f64 v[14:15], s[2:3], -s[16:17], v[2:3], -s[16:17]
	v_fmac_f64_e32 v[34:35], v[34:35], v[40:41]
	v_fma_f64 v[36:37], -v[16:17], v[30:31], 1.0
	v_fmac_f64_e32 v[20:21], v[20:21], v[38:39]
	v_fma_f64 v[38:39], -v[22:23], v[32:33], 1.0
	v_div_scale_f64 v[18:19], s[4:5], v[4:5], v[2:3], v[4:5]
	v_div_scale_f64 v[24:25], vcc, v[10:11], v[8:9], v[10:11]
	v_fma_f64 v[40:41], -v[26:27], v[34:35], 1.0
	v_fmac_f64_e32 v[30:31], v[30:31], v[36:37]
	v_mul_f64 v[36:37], v[14:15], v[20:21]
	v_fmac_f64_e32 v[32:33], v[32:33], v[38:39]
	v_div_scale_f64 v[28:29], s[6:7], -s[16:17], v[8:9], -s[16:17]
	v_fmac_f64_e32 v[34:35], v[34:35], v[40:41]
	v_mul_f64 v[38:39], v[18:19], v[30:31]
	v_fma_f64 v[14:15], -v[12:13], v[36:37], v[14:15]
	v_mul_f64 v[12:13], v[24:25], v[32:33]
	v_mul_f64 v[40:41], v[28:29], v[34:35]
	v_fma_f64 v[16:17], -v[16:17], v[38:39], v[18:19]
	v_fma_f64 v[18:19], -v[22:23], v[12:13], v[24:25]
	;; [unrolled: 1-line block ×3, first 2 shown]
	v_div_fmas_f64 v[12:13], v[18:19], v[32:33], v[12:13]
	s_mov_b64 vcc, s[6:7]
	v_div_fixup_f64 v[10:11], v[12:13], v[8:9], v[10:11]
	v_div_fmas_f64 v[12:13], v[22:23], v[34:35], v[40:41]
	s_mov_b64 vcc, s[4:5]
	v_div_fixup_f64 v[12:13], v[12:13], v[8:9], -s[16:17]
	v_div_fmas_f64 v[8:9], v[16:17], v[30:31], v[38:39]
	s_mov_b64 vcc, s[2:3]
	v_div_fixup_f64 v[8:9], v[8:9], v[2:3], v[4:5]
	v_div_fmas_f64 v[4:5], v[14:15], v[20:21], v[36:37]
	ds_write_b128 v1, v[10:13]
	v_div_fixup_f64 v[10:11], v[4:5], v[2:3], -s[16:17]
	s_mov_b64 s[4:5], s[18:19]
	global_store_dwordx4 v1, v[8:11], s[14:15]
.LBB4_17:
	s_andn2_b64 vcc, exec, s[4:5]
	s_cbranch_vccz .LBB4_24
; %bb.18:
	s_andn2_b64 vcc, exec, s[22:23]
	s_cbranch_vccnz .LBB4_20
.LBB4_19:
	v_mov_b32_e32 v4, 0
	v_mov_b32_e32 v5, v4
	s_waitcnt vmcnt(0)
	global_store_dwordx4 v4, v[2:5], s[8:9]
.LBB4_20:
	s_or_b64 exec, exec, s[12:13]
	s_waitcnt lgkmcnt(0)
	s_barrier
	s_and_saveexec_b64 s[2:3], s[0:1]
	s_cbranch_execz .LBB4_23
; %bb.21:
	v_mov_b32_e32 v1, 0
	s_waitcnt vmcnt(0)
	ds_read_b128 v[2:5], v1
	s_lshl_b32 s2, s25, 10
	s_mov_b64 s[0:1], 0
.LBB4_22:                               ; =>This Inner Loop Header: Depth=1
	v_ashrrev_i32_e32 v7, 31, v6
	v_lshl_add_u64 v[14:15], v[6:7], 4, s[10:11]
	global_load_dwordx4 v[8:11], v[14:15], off
	v_add_u32_e32 v0, 0x400, v0
	v_cmp_le_i32_e32 vcc, s24, v0
	s_or_b64 s[0:1], vcc, s[0:1]
	v_add_u32_e32 v6, s2, v6
	s_waitcnt vmcnt(0) lgkmcnt(0)
	v_mul_f64 v[16:17], v[4:5], v[10:11]
	v_mul_f64 v[12:13], v[2:3], v[10:11]
	v_fma_f64 v[10:11], v[2:3], v[8:9], -v[16:17]
	v_fmac_f64_e32 v[12:13], v[4:5], v[8:9]
	global_store_dwordx4 v[14:15], v[10:13], off
	s_andn2_b64 exec, exec, s[0:1]
	s_cbranch_execnz .LBB4_22
.LBB4_23:
	s_endpgm
.LBB4_24:
	v_mov_b32_e32 v1, 0
	s_waitcnt vmcnt(0)
	global_store_dwordx2 v1, v[2:3], s[20:21]
	v_mov_b64_e32 v[2:3], 1.0
	s_branch .LBB4_19
	.section	.rodata,"a",@progbits
	.p2align	6, 0x0
	.amdhsa_kernel _ZN9rocsolver6v33100L18larfg_kernel_smallILi1024E19rocblas_complex_numIdEidPS3_EEvT1_T3_llPT2_llS6_lS5_lPT0_l
		.amdhsa_group_segment_fixed_size 256
		.amdhsa_private_segment_fixed_size 0
		.amdhsa_kernarg_size 104
		.amdhsa_user_sgpr_count 2
		.amdhsa_user_sgpr_dispatch_ptr 0
		.amdhsa_user_sgpr_queue_ptr 0
		.amdhsa_user_sgpr_kernarg_segment_ptr 1
		.amdhsa_user_sgpr_dispatch_id 0
		.amdhsa_user_sgpr_kernarg_preload_length 0
		.amdhsa_user_sgpr_kernarg_preload_offset 0
		.amdhsa_user_sgpr_private_segment_size 0
		.amdhsa_uses_dynamic_stack 0
		.amdhsa_enable_private_segment 0
		.amdhsa_system_sgpr_workgroup_id_x 1
		.amdhsa_system_sgpr_workgroup_id_y 0
		.amdhsa_system_sgpr_workgroup_id_z 1
		.amdhsa_system_sgpr_workgroup_info 0
		.amdhsa_system_vgpr_workitem_id 0
		.amdhsa_next_free_vgpr 42
		.amdhsa_next_free_sgpr 26
		.amdhsa_accum_offset 44
		.amdhsa_reserve_vcc 1
		.amdhsa_float_round_mode_32 0
		.amdhsa_float_round_mode_16_64 0
		.amdhsa_float_denorm_mode_32 3
		.amdhsa_float_denorm_mode_16_64 3
		.amdhsa_dx10_clamp 1
		.amdhsa_ieee_mode 1
		.amdhsa_fp16_overflow 0
		.amdhsa_tg_split 0
		.amdhsa_exception_fp_ieee_invalid_op 0
		.amdhsa_exception_fp_denorm_src 0
		.amdhsa_exception_fp_ieee_div_zero 0
		.amdhsa_exception_fp_ieee_overflow 0
		.amdhsa_exception_fp_ieee_underflow 0
		.amdhsa_exception_fp_ieee_inexact 0
		.amdhsa_exception_int_div_zero 0
	.end_amdhsa_kernel
	.section	.text._ZN9rocsolver6v33100L18larfg_kernel_smallILi1024E19rocblas_complex_numIdEidPS3_EEvT1_T3_llPT2_llS6_lS5_lPT0_l,"axG",@progbits,_ZN9rocsolver6v33100L18larfg_kernel_smallILi1024E19rocblas_complex_numIdEidPS3_EEvT1_T3_llPT2_llS6_lS5_lPT0_l,comdat
.Lfunc_end4:
	.size	_ZN9rocsolver6v33100L18larfg_kernel_smallILi1024E19rocblas_complex_numIdEidPS3_EEvT1_T3_llPT2_llS6_lS5_lPT0_l, .Lfunc_end4-_ZN9rocsolver6v33100L18larfg_kernel_smallILi1024E19rocblas_complex_numIdEidPS3_EEvT1_T3_llPT2_llS6_lS5_lPT0_l
                                        ; -- End function
	.set _ZN9rocsolver6v33100L18larfg_kernel_smallILi1024E19rocblas_complex_numIdEidPS3_EEvT1_T3_llPT2_llS6_lS5_lPT0_l.num_vgpr, 42
	.set _ZN9rocsolver6v33100L18larfg_kernel_smallILi1024E19rocblas_complex_numIdEidPS3_EEvT1_T3_llPT2_llS6_lS5_lPT0_l.num_agpr, 0
	.set _ZN9rocsolver6v33100L18larfg_kernel_smallILi1024E19rocblas_complex_numIdEidPS3_EEvT1_T3_llPT2_llS6_lS5_lPT0_l.numbered_sgpr, 26
	.set _ZN9rocsolver6v33100L18larfg_kernel_smallILi1024E19rocblas_complex_numIdEidPS3_EEvT1_T3_llPT2_llS6_lS5_lPT0_l.num_named_barrier, 0
	.set _ZN9rocsolver6v33100L18larfg_kernel_smallILi1024E19rocblas_complex_numIdEidPS3_EEvT1_T3_llPT2_llS6_lS5_lPT0_l.private_seg_size, 0
	.set _ZN9rocsolver6v33100L18larfg_kernel_smallILi1024E19rocblas_complex_numIdEidPS3_EEvT1_T3_llPT2_llS6_lS5_lPT0_l.uses_vcc, 1
	.set _ZN9rocsolver6v33100L18larfg_kernel_smallILi1024E19rocblas_complex_numIdEidPS3_EEvT1_T3_llPT2_llS6_lS5_lPT0_l.uses_flat_scratch, 0
	.set _ZN9rocsolver6v33100L18larfg_kernel_smallILi1024E19rocblas_complex_numIdEidPS3_EEvT1_T3_llPT2_llS6_lS5_lPT0_l.has_dyn_sized_stack, 0
	.set _ZN9rocsolver6v33100L18larfg_kernel_smallILi1024E19rocblas_complex_numIdEidPS3_EEvT1_T3_llPT2_llS6_lS5_lPT0_l.has_recursion, 0
	.set _ZN9rocsolver6v33100L18larfg_kernel_smallILi1024E19rocblas_complex_numIdEidPS3_EEvT1_T3_llPT2_llS6_lS5_lPT0_l.has_indirect_call, 0
	.section	.AMDGPU.csdata,"",@progbits
; Kernel info:
; codeLenInByte = 2284
; TotalNumSgprs: 32
; NumVgprs: 42
; NumAgprs: 0
; TotalNumVgprs: 42
; ScratchSize: 0
; MemoryBound: 0
; FloatMode: 240
; IeeeMode: 1
; LDSByteSize: 256 bytes/workgroup (compile time only)
; SGPRBlocks: 3
; VGPRBlocks: 5
; NumSGPRsForWavesPerEU: 32
; NumVGPRsForWavesPerEU: 42
; AccumOffset: 44
; Occupancy: 8
; WaveLimiterHint : 1
; COMPUTE_PGM_RSRC2:SCRATCH_EN: 0
; COMPUTE_PGM_RSRC2:USER_SGPR: 2
; COMPUTE_PGM_RSRC2:TRAP_HANDLER: 0
; COMPUTE_PGM_RSRC2:TGID_X_EN: 1
; COMPUTE_PGM_RSRC2:TGID_Y_EN: 0
; COMPUTE_PGM_RSRC2:TGID_Z_EN: 1
; COMPUTE_PGM_RSRC2:TIDIG_COMP_CNT: 0
; COMPUTE_PGM_RSRC3_GFX90A:ACCUM_OFFSET: 10
; COMPUTE_PGM_RSRC3_GFX90A:TG_SPLIT: 0
	.section	.text._ZN9rocsolver6v33100L18larfg_kernel_smallILi64E19rocblas_complex_numIdEidPKPS3_EEvT1_T3_llPT2_llS8_lS7_lPT0_l,"axG",@progbits,_ZN9rocsolver6v33100L18larfg_kernel_smallILi64E19rocblas_complex_numIdEidPKPS3_EEvT1_T3_llPT2_llS8_lS7_lPT0_l,comdat
	.globl	_ZN9rocsolver6v33100L18larfg_kernel_smallILi64E19rocblas_complex_numIdEidPKPS3_EEvT1_T3_llPT2_llS8_lS7_lPT0_l ; -- Begin function _ZN9rocsolver6v33100L18larfg_kernel_smallILi64E19rocblas_complex_numIdEidPKPS3_EEvT1_T3_llPT2_llS8_lS7_lPT0_l
	.p2align	8
	.type	_ZN9rocsolver6v33100L18larfg_kernel_smallILi64E19rocblas_complex_numIdEidPKPS3_EEvT1_T3_llPT2_llS8_lS7_lPT0_l,@function
_ZN9rocsolver6v33100L18larfg_kernel_smallILi64E19rocblas_complex_numIdEidPKPS3_EEvT1_T3_llPT2_llS8_lS7_lPT0_l: ; @_ZN9rocsolver6v33100L18larfg_kernel_smallILi64E19rocblas_complex_numIdEidPKPS3_EEvT1_T3_llPT2_llS8_lS7_lPT0_l
; %bb.0:
	s_mov_b32 s16, s3
	s_load_dwordx4 s[12:15], s[0:1], 0x8
	s_load_dwordx8 s[4:11], s[0:1], 0x20
	s_load_dwordx2 s[2:3], s[0:1], 0x40
	s_ashr_i32 s17, s16, 31
	s_lshl_b64 s[18:19], s[16:17], 3
	s_waitcnt lgkmcnt(0)
	s_add_u32 s12, s12, s18
	s_addc_u32 s13, s13, s19
	s_add_u32 s10, s10, s18
	s_addc_u32 s11, s11, s19
	s_load_dwordx2 s[18:19], s[10:11], 0x0
	s_cmp_eq_u64 s[4:5], 0
	s_mov_b64 s[10:11], 0
	s_cbranch_scc1 .LBB5_2
; %bb.1:
	s_mul_i32 s10, s8, s17
	s_mul_hi_u32 s11, s8, s16
	s_add_i32 s10, s11, s10
	s_mul_i32 s9, s9, s16
	s_add_i32 s9, s10, s9
	s_mul_i32 s8, s8, s16
	s_lshl_b64 s[8:9], s[8:9], 3
	s_add_u32 s8, s4, s8
	s_addc_u32 s9, s5, s9
	s_lshl_b64 s[4:5], s[6:7], 3
	s_add_u32 s10, s8, s4
	s_addc_u32 s11, s9, s5
.LBB5_2:
	s_load_dwordx2 s[4:5], s[12:13], 0x0
	s_load_dword s24, s[0:1], 0x0
	s_load_dword s25, s[0:1], 0x48
	s_lshl_b64 s[2:3], s[2:3], 4
	s_waitcnt lgkmcnt(0)
	s_add_u32 s8, s18, s2
	s_addc_u32 s9, s19, s3
	s_add_i32 s24, s24, -1
	v_cmp_gt_i32_e64 s[2:3], s24, v0
	v_mov_b64_e32 v[2:3], 0
	v_mul_lo_u32 v8, v0, s25
	v_mov_b64_e32 v[4:5], 0
	s_and_saveexec_b64 s[6:7], s[2:3]
	s_cbranch_execz .LBB5_6
; %bb.3:
	v_mul_lo_u32 v6, v0, s25
	s_lshl_b32 s18, s25, 6
	v_mov_b64_e32 v[2:3], 0
	s_mov_b64 s[12:13], 0
	v_mov_b32_e32 v1, v0
	v_mov_b64_e32 v[4:5], 0
.LBB5_4:                                ; =>This Inner Loop Header: Depth=1
	v_ashrrev_i32_e32 v7, 31, v6
	v_lshl_add_u64 v[10:11], v[6:7], 4, s[8:9]
	flat_load_dwordx4 v[10:13], v[10:11]
	v_add_u32_e32 v1, 64, v1
	v_cmp_le_i32_e32 vcc, s24, v1
	s_or_b64 s[12:13], vcc, s[12:13]
	v_add_u32_e32 v6, s18, v6
	s_waitcnt vmcnt(0) lgkmcnt(0)
	v_mul_f64 v[14:15], v[12:13], v[12:13]
	v_mul_f64 v[16:17], v[10:11], v[12:13]
	v_fmac_f64_e32 v[14:15], v[10:11], v[10:11]
	v_fma_f64 v[10:11], v[10:11], v[12:13], -v[16:17]
	v_add_f64 v[4:5], v[4:5], v[14:15]
	v_add_f64 v[2:3], v[2:3], v[10:11]
	s_andn2_b64 exec, exec, s[12:13]
	s_cbranch_execnz .LBB5_4
; %bb.5:
	s_or_b64 exec, exec, s[12:13]
.LBB5_6:
	s_or_b64 exec, exec, s[6:7]
	v_mbcnt_lo_u32_b32 v1, -1, 0
	v_mbcnt_hi_u32_b32 v1, -1, v1
	v_and_b32_e32 v9, 63, v1
	v_cmp_ne_u32_e32 vcc, 63, v9
	s_nop 1
	v_addc_co_u32_e32 v6, vcc, 0, v1, vcc
	v_lshlrev_b32_e32 v11, 2, v6
	ds_bpermute_b32 v6, v11, v4
	ds_bpermute_b32 v7, v11, v5
	ds_bpermute_b32 v10, v11, v2
	ds_bpermute_b32 v11, v11, v3
	v_cmp_gt_u32_e32 vcc, 62, v9
	s_waitcnt lgkmcnt(2)
	v_add_f64 v[4:5], v[4:5], v[6:7]
	v_cndmask_b32_e64 v6, 0, 2, vcc
	s_waitcnt lgkmcnt(0)
	v_add_f64 v[2:3], v[2:3], v[10:11]
	v_add_lshl_u32 v11, v6, v1, 2
	ds_bpermute_b32 v6, v11, v4
	ds_bpermute_b32 v7, v11, v5
	ds_bpermute_b32 v10, v11, v2
	ds_bpermute_b32 v11, v11, v3
	v_cmp_gt_u32_e32 vcc, 60, v9
	s_waitcnt lgkmcnt(2)
	v_add_f64 v[4:5], v[4:5], v[6:7]
	v_cndmask_b32_e64 v6, 0, 4, vcc
	s_waitcnt lgkmcnt(0)
	v_add_f64 v[2:3], v[2:3], v[10:11]
	v_add_lshl_u32 v11, v6, v1, 2
	;; [unrolled: 11-line block ×4, first 2 shown]
	ds_bpermute_b32 v6, v9, v4
	ds_bpermute_b32 v7, v9, v5
	;; [unrolled: 1-line block ×4, first 2 shown]
	v_cmp_eq_u32_e32 vcc, 0, v0
	s_waitcnt lgkmcnt(2)
	v_add_f64 v[4:5], v[4:5], v[6:7]
	s_waitcnt lgkmcnt(0)
	v_add_f64 v[6:7], v[2:3], v[10:11]
	v_mov_b32_e32 v2, 0x80
	v_lshl_or_b32 v1, v1, 2, v2
	ds_bpermute_b32 v2, v1, v4
	ds_bpermute_b32 v3, v1, v5
	;; [unrolled: 1-line block ×4, first 2 shown]
	s_waitcnt lgkmcnt(2)
	v_add_f64 v[2:3], v[4:5], v[2:3]
	s_waitcnt lgkmcnt(0)
	v_add_f64 v[4:5], v[6:7], v[10:11]
	s_and_saveexec_b64 s[6:7], vcc
; %bb.7:
	v_lshrrev_b32_e32 v1, 2, v0
	ds_write_b128 v1, v[2:5]
; %bb.8:
	s_or_b64 exec, exec, s[6:7]
	v_cmp_eq_u32_e32 vcc, 0, v0
	s_waitcnt lgkmcnt(0)
	; wave barrier
	s_and_saveexec_b64 s[6:7], vcc
; %bb.9:
	v_mov_b32_e32 v1, 0
	ds_write_b128 v1, v[2:5]
; %bb.10:
	s_or_b64 exec, exec, s[6:7]
	s_waitcnt lgkmcnt(0)
	; wave barrier
	s_and_saveexec_b64 s[12:13], vcc
	s_cbranch_execz .LBB5_18
; %bb.11:
	s_lshl_b64 s[6:7], s[14:15], 4
	s_add_u32 s14, s4, s6
	s_addc_u32 s15, s5, s7
	v_mov_b64_e32 v[2:3], s[14:15]
	flat_load_dwordx2 v[6:7], v[2:3] offset:8
	s_load_dwordx4 s[4:7], s[0:1], 0x58
	v_mov_b32_e32 v4, 0
	ds_read_b64 v[12:13], v4
	s_mov_b64 s[20:21], 0
	s_waitcnt lgkmcnt(0)
	s_mul_i32 s1, s6, s17
	s_mul_hi_u32 s17, s6, s16
	s_mul_i32 s7, s7, s16
	s_add_i32 s1, s17, s1
	s_mul_i32 s0, s6, s16
	s_add_i32 s1, s1, s7
	s_lshl_b64 s[0:1], s[0:1], 4
	s_add_u32 s16, s4, s0
	s_addc_u32 s17, s5, s1
	v_max_f64 v[2:3], v[12:13], v[12:13]
	s_cmp_eq_u64 s[10:11], 0
	s_cselect_b64 s[4:5], -1, 0
	s_cmp_lg_u64 s[10:11], 0
	s_cselect_b64 s[0:1], -1, 0
	s_mov_b64 s[6:7], 0
	s_waitcnt vmcnt(0)
	v_mul_f64 v[10:11], v[6:7], v[6:7]
	v_max_f64 v[2:3], v[2:3], v[10:11]
	v_cmp_nlt_f64_e32 vcc, 0, v[2:3]
                                        ; implicit-def: $vgpr2_vgpr3
	s_and_saveexec_b64 s[18:19], vcc
	s_xor_b64 s[18:19], exec, s[18:19]
	s_cbranch_execz .LBB5_14
; %bb.12:
	v_mov_b32_e32 v5, 0x3ff00000
	v_mov_b32_e32 v6, v4
	;; [unrolled: 1-line block ×3, first 2 shown]
	ds_write_b128 v4, v[4:7]
	v_mov_b32_e32 v5, v4
	s_and_b64 vcc, exec, s[0:1]
	global_store_dwordx4 v4, v[4:7], s[16:17]
	s_cbranch_vccz .LBB5_22
; %bb.13:
	v_mov_b64_e32 v[2:3], s[14:15]
	flat_load_dwordx2 v[2:3], v[2:3]
	s_mov_b64 s[6:7], -1
	s_and_b64 s[6:7], s[6:7], exec
                                        ; implicit-def: $vgpr10_vgpr11
                                        ; implicit-def: $vgpr12_vgpr13
                                        ; implicit-def: $vgpr6_vgpr7
	s_andn2_saveexec_b64 s[18:19], s[18:19]
	s_cbranch_execz .LBB5_23
	s_branch .LBB5_15
.LBB5_14:
	s_andn2_saveexec_b64 s[18:19], s[18:19]
	s_cbranch_execz .LBB5_23
.LBB5_15:
	s_waitcnt vmcnt(0) lgkmcnt(0)
	v_mov_b64_e32 v[2:3], s[14:15]
	flat_load_dwordx2 v[4:5], v[2:3]
	s_mov_b32 s22, 0
	s_brev_b32 s23, 8
	v_mov_b32_e32 v1, 0x100
	v_mov_b32_e32 v9, 0xffffff80
	;; [unrolled: 1-line block ×3, first 2 shown]
	s_and_b64 s[26:27], s[0:1], exec
	s_and_b64 s[20:21], s[4:5], exec
	v_mov_b32_e32 v44, 0
	s_waitcnt vmcnt(0) lgkmcnt(0)
	v_fma_f64 v[2:3], v[4:5], v[4:5], v[10:11]
	v_add_f64 v[2:3], v[12:13], v[2:3]
	v_cmp_gt_f64_e32 vcc, s[22:23], v[2:3]
	s_andn2_b64 s[22:23], s[6:7], exec
	s_nop 0
	v_cndmask_b32_e32 v1, 0, v1, vcc
	v_ldexp_f64 v[2:3], v[2:3], v1
	v_rsq_f64_e32 v[12:13], v[2:3]
	v_cndmask_b32_e32 v1, 0, v9, vcc
	v_cmp_class_f64_e32 vcc, v[2:3], v18
	v_mul_f64 v[14:15], v[2:3], v[12:13]
	v_mul_f64 v[12:13], v[12:13], 0.5
	v_fma_f64 v[16:17], -v[12:13], v[14:15], 0.5
	v_fmac_f64_e32 v[14:15], v[14:15], v[16:17]
	v_fmac_f64_e32 v[12:13], v[12:13], v[16:17]
	v_fma_f64 v[16:17], -v[14:15], v[14:15], v[2:3]
	v_fmac_f64_e32 v[14:15], v[16:17], v[12:13]
	v_fma_f64 v[16:17], -v[14:15], v[14:15], v[2:3]
	v_fmac_f64_e32 v[14:15], v[16:17], v[12:13]
	v_ldexp_f64 v[12:13], v[14:15], v1
	v_cndmask_b32_e32 v1, v13, v3, vcc
	v_cndmask_b32_e32 v2, v12, v2, vcc
	v_xor_b32_e32 v3, 0x80000000, v1
	v_cmp_le_f64_e32 vcc, 0, v[4:5]
	s_nop 1
	v_cndmask_b32_e32 v3, v1, v3, vcc
	v_add_f64 v[12:13], v[4:5], -v[2:3]
	v_add_f64 v[4:5], v[2:3], -v[4:5]
	v_div_scale_f64 v[14:15], s[0:1], v[2:3], v[2:3], -v[6:7]
	v_fmac_f64_e32 v[10:11], v[12:13], v[12:13]
	v_div_scale_f64 v[18:19], s[4:5], v[2:3], v[2:3], v[4:5]
	v_rcp_f64_e32 v[22:23], v[14:15]
	v_div_scale_f64 v[24:25], s[6:7], v[10:11], v[10:11], v[12:13]
	v_div_scale_f64 v[28:29], s[6:7], v[10:11], v[10:11], -v[6:7]
	v_rcp_f64_e32 v[32:33], v[18:19]
	v_rcp_f64_e32 v[34:35], v[24:25]
	;; [unrolled: 1-line block ×3, first 2 shown]
	v_fma_f64 v[38:39], -v[14:15], v[22:23], 1.0
	v_fma_f64 v[40:41], -v[18:19], v[32:33], 1.0
	v_fmac_f64_e32 v[22:23], v[22:23], v[38:39]
	v_fma_f64 v[38:39], -v[24:25], v[34:35], 1.0
	v_fma_f64 v[42:43], -v[28:29], v[36:37], 1.0
	v_fmac_f64_e32 v[32:33], v[32:33], v[40:41]
	v_fma_f64 v[40:41], -v[14:15], v[22:23], 1.0
	v_fmac_f64_e32 v[34:35], v[34:35], v[38:39]
	v_div_scale_f64 v[16:17], s[0:1], -v[6:7], v[2:3], -v[6:7]
	v_fmac_f64_e32 v[36:37], v[36:37], v[42:43]
	v_fma_f64 v[38:39], -v[18:19], v[32:33], 1.0
	v_fmac_f64_e32 v[22:23], v[22:23], v[40:41]
	v_fma_f64 v[40:41], -v[24:25], v[34:35], 1.0
	v_div_scale_f64 v[20:21], s[4:5], v[4:5], v[2:3], v[4:5]
	v_div_scale_f64 v[26:27], vcc, v[12:13], v[10:11], v[12:13]
	v_fma_f64 v[42:43], -v[28:29], v[36:37], 1.0
	v_fmac_f64_e32 v[32:33], v[32:33], v[38:39]
	v_mul_f64 v[38:39], v[16:17], v[22:23]
	v_fmac_f64_e32 v[34:35], v[34:35], v[40:41]
	v_div_scale_f64 v[30:31], s[6:7], -v[6:7], v[10:11], -v[6:7]
	v_fmac_f64_e32 v[36:37], v[36:37], v[42:43]
	v_mul_f64 v[40:41], v[20:21], v[32:33]
	v_fma_f64 v[16:17], -v[14:15], v[38:39], v[16:17]
	v_mul_f64 v[14:15], v[26:27], v[34:35]
	v_mul_f64 v[42:43], v[30:31], v[36:37]
	v_fma_f64 v[18:19], -v[18:19], v[40:41], v[20:21]
	v_fma_f64 v[20:21], -v[24:25], v[14:15], v[26:27]
	;; [unrolled: 1-line block ×3, first 2 shown]
	v_div_fmas_f64 v[14:15], v[20:21], v[34:35], v[14:15]
	s_mov_b64 vcc, s[6:7]
	v_div_fixup_f64 v[12:13], v[14:15], v[10:11], v[12:13]
	v_div_fmas_f64 v[14:15], v[24:25], v[36:37], v[42:43]
	s_mov_b64 vcc, s[4:5]
	v_div_fixup_f64 v[14:15], v[14:15], v[10:11], -v[6:7]
	v_div_fmas_f64 v[10:11], v[18:19], v[32:33], v[40:41]
	s_mov_b64 vcc, s[0:1]
	v_div_fixup_f64 v[4:5], v[10:11], v[2:3], v[4:5]
	v_div_fmas_f64 v[10:11], v[16:17], v[22:23], v[38:39]
	v_div_fixup_f64 v[6:7], v[10:11], v[2:3], -v[6:7]
	ds_write_b128 v44, v[12:15]
	global_store_dwordx4 v44, v[4:7], s[16:17]
	s_or_b64 s[6:7], s[22:23], s[26:27]
	s_or_b64 exec, exec, s[18:19]
	s_and_saveexec_b64 s[0:1], s[6:7]
	s_cbranch_execnz .LBB5_24
.LBB5_16:
	s_or_b64 exec, exec, s[0:1]
	s_and_b64 exec, exec, s[20:21]
	s_cbranch_execz .LBB5_18
.LBB5_17:
	v_mov_b32_e32 v4, 0
	v_mov_b32_e32 v5, v4
	v_mov_b64_e32 v[6:7], s[14:15]
	s_waitcnt vmcnt(0) lgkmcnt(0)
	flat_store_dwordx4 v[6:7], v[2:5]
.LBB5_18:
	s_or_b64 exec, exec, s[12:13]
	s_waitcnt lgkmcnt(0)
	; wave barrier
	s_and_saveexec_b64 s[0:1], s[2:3]
	s_cbranch_execz .LBB5_21
; %bb.19:
	v_mov_b32_e32 v1, 0
	s_waitcnt vmcnt(0)
	ds_read_b128 v[2:5], v1
	s_lshl_b32 s2, s25, 6
	s_mov_b64 s[0:1], 0
.LBB5_20:                               ; =>This Inner Loop Header: Depth=1
	v_ashrrev_i32_e32 v9, 31, v8
	v_lshl_add_u64 v[6:7], v[8:9], 4, s[8:9]
	flat_load_dwordx4 v[10:13], v[6:7]
	v_add_u32_e32 v0, 64, v0
	v_cmp_le_i32_e32 vcc, s24, v0
	s_or_b64 s[0:1], vcc, s[0:1]
	v_add_u32_e32 v8, s2, v8
	s_waitcnt vmcnt(0) lgkmcnt(0)
	v_mul_f64 v[16:17], v[4:5], v[12:13]
	v_mul_f64 v[14:15], v[2:3], v[12:13]
	v_fma_f64 v[12:13], v[2:3], v[10:11], -v[16:17]
	v_fmac_f64_e32 v[14:15], v[4:5], v[10:11]
	flat_store_dwordx4 v[6:7], v[12:15]
	s_andn2_b64 exec, exec, s[0:1]
	s_cbranch_execnz .LBB5_20
.LBB5_21:
	s_endpgm
.LBB5_22:
                                        ; implicit-def: $vgpr2_vgpr3
	s_and_b64 s[6:7], s[6:7], exec
                                        ; implicit-def: $vgpr10_vgpr11
                                        ; implicit-def: $vgpr12_vgpr13
                                        ; implicit-def: $vgpr6_vgpr7
	s_andn2_saveexec_b64 s[18:19], s[18:19]
	s_cbranch_execnz .LBB5_15
.LBB5_23:
	s_or_b64 exec, exec, s[18:19]
	s_and_saveexec_b64 s[0:1], s[6:7]
	s_cbranch_execz .LBB5_16
.LBB5_24:
	v_mov_b32_e32 v1, 0
	s_waitcnt vmcnt(0) lgkmcnt(0)
	global_store_dwordx2 v1, v[2:3], s[10:11]
	v_mov_b64_e32 v[2:3], 1.0
	s_or_b64 s[20:21], s[20:21], exec
	s_or_b64 exec, exec, s[0:1]
	s_and_b64 exec, exec, s[20:21]
	s_cbranch_execnz .LBB5_17
	s_branch .LBB5_18
	.section	.rodata,"a",@progbits
	.p2align	6, 0x0
	.amdhsa_kernel _ZN9rocsolver6v33100L18larfg_kernel_smallILi64E19rocblas_complex_numIdEidPKPS3_EEvT1_T3_llPT2_llS8_lS7_lPT0_l
		.amdhsa_group_segment_fixed_size 16
		.amdhsa_private_segment_fixed_size 0
		.amdhsa_kernarg_size 104
		.amdhsa_user_sgpr_count 2
		.amdhsa_user_sgpr_dispatch_ptr 0
		.amdhsa_user_sgpr_queue_ptr 0
		.amdhsa_user_sgpr_kernarg_segment_ptr 1
		.amdhsa_user_sgpr_dispatch_id 0
		.amdhsa_user_sgpr_kernarg_preload_length 0
		.amdhsa_user_sgpr_kernarg_preload_offset 0
		.amdhsa_user_sgpr_private_segment_size 0
		.amdhsa_uses_dynamic_stack 0
		.amdhsa_enable_private_segment 0
		.amdhsa_system_sgpr_workgroup_id_x 1
		.amdhsa_system_sgpr_workgroup_id_y 0
		.amdhsa_system_sgpr_workgroup_id_z 1
		.amdhsa_system_sgpr_workgroup_info 0
		.amdhsa_system_vgpr_workitem_id 0
		.amdhsa_next_free_vgpr 45
		.amdhsa_next_free_sgpr 28
		.amdhsa_accum_offset 48
		.amdhsa_reserve_vcc 1
		.amdhsa_float_round_mode_32 0
		.amdhsa_float_round_mode_16_64 0
		.amdhsa_float_denorm_mode_32 3
		.amdhsa_float_denorm_mode_16_64 3
		.amdhsa_dx10_clamp 1
		.amdhsa_ieee_mode 1
		.amdhsa_fp16_overflow 0
		.amdhsa_tg_split 0
		.amdhsa_exception_fp_ieee_invalid_op 0
		.amdhsa_exception_fp_denorm_src 0
		.amdhsa_exception_fp_ieee_div_zero 0
		.amdhsa_exception_fp_ieee_overflow 0
		.amdhsa_exception_fp_ieee_underflow 0
		.amdhsa_exception_fp_ieee_inexact 0
		.amdhsa_exception_int_div_zero 0
	.end_amdhsa_kernel
	.section	.text._ZN9rocsolver6v33100L18larfg_kernel_smallILi64E19rocblas_complex_numIdEidPKPS3_EEvT1_T3_llPT2_llS8_lS7_lPT0_l,"axG",@progbits,_ZN9rocsolver6v33100L18larfg_kernel_smallILi64E19rocblas_complex_numIdEidPKPS3_EEvT1_T3_llPT2_llS8_lS7_lPT0_l,comdat
.Lfunc_end5:
	.size	_ZN9rocsolver6v33100L18larfg_kernel_smallILi64E19rocblas_complex_numIdEidPKPS3_EEvT1_T3_llPT2_llS8_lS7_lPT0_l, .Lfunc_end5-_ZN9rocsolver6v33100L18larfg_kernel_smallILi64E19rocblas_complex_numIdEidPKPS3_EEvT1_T3_llPT2_llS8_lS7_lPT0_l
                                        ; -- End function
	.set _ZN9rocsolver6v33100L18larfg_kernel_smallILi64E19rocblas_complex_numIdEidPKPS3_EEvT1_T3_llPT2_llS8_lS7_lPT0_l.num_vgpr, 45
	.set _ZN9rocsolver6v33100L18larfg_kernel_smallILi64E19rocblas_complex_numIdEidPKPS3_EEvT1_T3_llPT2_llS8_lS7_lPT0_l.num_agpr, 0
	.set _ZN9rocsolver6v33100L18larfg_kernel_smallILi64E19rocblas_complex_numIdEidPKPS3_EEvT1_T3_llPT2_llS8_lS7_lPT0_l.numbered_sgpr, 28
	.set _ZN9rocsolver6v33100L18larfg_kernel_smallILi64E19rocblas_complex_numIdEidPKPS3_EEvT1_T3_llPT2_llS8_lS7_lPT0_l.num_named_barrier, 0
	.set _ZN9rocsolver6v33100L18larfg_kernel_smallILi64E19rocblas_complex_numIdEidPKPS3_EEvT1_T3_llPT2_llS8_lS7_lPT0_l.private_seg_size, 0
	.set _ZN9rocsolver6v33100L18larfg_kernel_smallILi64E19rocblas_complex_numIdEidPKPS3_EEvT1_T3_llPT2_llS8_lS7_lPT0_l.uses_vcc, 1
	.set _ZN9rocsolver6v33100L18larfg_kernel_smallILi64E19rocblas_complex_numIdEidPKPS3_EEvT1_T3_llPT2_llS8_lS7_lPT0_l.uses_flat_scratch, 0
	.set _ZN9rocsolver6v33100L18larfg_kernel_smallILi64E19rocblas_complex_numIdEidPKPS3_EEvT1_T3_llPT2_llS8_lS7_lPT0_l.has_dyn_sized_stack, 0
	.set _ZN9rocsolver6v33100L18larfg_kernel_smallILi64E19rocblas_complex_numIdEidPKPS3_EEvT1_T3_llPT2_llS8_lS7_lPT0_l.has_recursion, 0
	.set _ZN9rocsolver6v33100L18larfg_kernel_smallILi64E19rocblas_complex_numIdEidPKPS3_EEvT1_T3_llPT2_llS8_lS7_lPT0_l.has_indirect_call, 0
	.section	.AMDGPU.csdata,"",@progbits
; Kernel info:
; codeLenInByte = 1900
; TotalNumSgprs: 34
; NumVgprs: 45
; NumAgprs: 0
; TotalNumVgprs: 45
; ScratchSize: 0
; MemoryBound: 0
; FloatMode: 240
; IeeeMode: 1
; LDSByteSize: 16 bytes/workgroup (compile time only)
; SGPRBlocks: 4
; VGPRBlocks: 5
; NumSGPRsForWavesPerEU: 34
; NumVGPRsForWavesPerEU: 45
; AccumOffset: 48
; Occupancy: 8
; WaveLimiterHint : 1
; COMPUTE_PGM_RSRC2:SCRATCH_EN: 0
; COMPUTE_PGM_RSRC2:USER_SGPR: 2
; COMPUTE_PGM_RSRC2:TRAP_HANDLER: 0
; COMPUTE_PGM_RSRC2:TGID_X_EN: 1
; COMPUTE_PGM_RSRC2:TGID_Y_EN: 0
; COMPUTE_PGM_RSRC2:TGID_Z_EN: 1
; COMPUTE_PGM_RSRC2:TIDIG_COMP_CNT: 0
; COMPUTE_PGM_RSRC3_GFX90A:ACCUM_OFFSET: 11
; COMPUTE_PGM_RSRC3_GFX90A:TG_SPLIT: 0
	.section	.text._ZN9rocsolver6v33100L18larfg_kernel_smallILi128E19rocblas_complex_numIdEidPKPS3_EEvT1_T3_llPT2_llS8_lS7_lPT0_l,"axG",@progbits,_ZN9rocsolver6v33100L18larfg_kernel_smallILi128E19rocblas_complex_numIdEidPKPS3_EEvT1_T3_llPT2_llS8_lS7_lPT0_l,comdat
	.globl	_ZN9rocsolver6v33100L18larfg_kernel_smallILi128E19rocblas_complex_numIdEidPKPS3_EEvT1_T3_llPT2_llS8_lS7_lPT0_l ; -- Begin function _ZN9rocsolver6v33100L18larfg_kernel_smallILi128E19rocblas_complex_numIdEidPKPS3_EEvT1_T3_llPT2_llS8_lS7_lPT0_l
	.p2align	8
	.type	_ZN9rocsolver6v33100L18larfg_kernel_smallILi128E19rocblas_complex_numIdEidPKPS3_EEvT1_T3_llPT2_llS8_lS7_lPT0_l,@function
_ZN9rocsolver6v33100L18larfg_kernel_smallILi128E19rocblas_complex_numIdEidPKPS3_EEvT1_T3_llPT2_llS8_lS7_lPT0_l: ; @_ZN9rocsolver6v33100L18larfg_kernel_smallILi128E19rocblas_complex_numIdEidPKPS3_EEvT1_T3_llPT2_llS8_lS7_lPT0_l
; %bb.0:
	s_mov_b32 s16, s3
	s_load_dwordx4 s[12:15], s[0:1], 0x8
	s_load_dwordx8 s[4:11], s[0:1], 0x20
	s_load_dwordx2 s[2:3], s[0:1], 0x40
	s_ashr_i32 s17, s16, 31
	s_lshl_b64 s[18:19], s[16:17], 3
	s_waitcnt lgkmcnt(0)
	s_add_u32 s12, s12, s18
	s_addc_u32 s13, s13, s19
	s_add_u32 s10, s10, s18
	s_addc_u32 s11, s11, s19
	s_load_dwordx2 s[18:19], s[10:11], 0x0
	s_cmp_eq_u64 s[4:5], 0
	s_mov_b64 s[10:11], 0
	s_cbranch_scc1 .LBB6_2
; %bb.1:
	s_mul_i32 s10, s8, s17
	s_mul_hi_u32 s11, s8, s16
	s_add_i32 s10, s11, s10
	s_mul_i32 s9, s9, s16
	s_add_i32 s9, s10, s9
	s_mul_i32 s8, s8, s16
	s_lshl_b64 s[8:9], s[8:9], 3
	s_add_u32 s8, s4, s8
	s_addc_u32 s9, s5, s9
	s_lshl_b64 s[4:5], s[6:7], 3
	s_add_u32 s10, s8, s4
	s_addc_u32 s11, s9, s5
.LBB6_2:
	s_load_dwordx2 s[4:5], s[12:13], 0x0
	s_load_dword s24, s[0:1], 0x0
	s_load_dword s25, s[0:1], 0x48
	s_lshl_b64 s[2:3], s[2:3], 4
	s_waitcnt lgkmcnt(0)
	s_add_u32 s8, s18, s2
	s_addc_u32 s9, s19, s3
	s_add_i32 s24, s24, -1
	v_cmp_gt_i32_e64 s[2:3], s24, v0
	v_mov_b64_e32 v[2:3], 0
	v_mul_lo_u32 v8, v0, s25
	v_mov_b64_e32 v[4:5], 0
	s_and_saveexec_b64 s[6:7], s[2:3]
	s_cbranch_execz .LBB6_6
; %bb.3:
	v_mul_lo_u32 v6, v0, s25
	s_lshl_b32 s18, s25, 7
	v_mov_b64_e32 v[2:3], 0
	s_mov_b64 s[12:13], 0
	v_mov_b32_e32 v1, v0
	v_mov_b64_e32 v[4:5], 0
.LBB6_4:                                ; =>This Inner Loop Header: Depth=1
	v_ashrrev_i32_e32 v7, 31, v6
	v_lshl_add_u64 v[10:11], v[6:7], 4, s[8:9]
	flat_load_dwordx4 v[10:13], v[10:11]
	v_add_u32_e32 v1, 0x80, v1
	v_cmp_le_i32_e32 vcc, s24, v1
	s_or_b64 s[12:13], vcc, s[12:13]
	v_add_u32_e32 v6, s18, v6
	s_waitcnt vmcnt(0) lgkmcnt(0)
	v_mul_f64 v[14:15], v[12:13], v[12:13]
	v_mul_f64 v[16:17], v[10:11], v[12:13]
	v_fmac_f64_e32 v[14:15], v[10:11], v[10:11]
	v_fma_f64 v[10:11], v[10:11], v[12:13], -v[16:17]
	v_add_f64 v[4:5], v[4:5], v[14:15]
	v_add_f64 v[2:3], v[2:3], v[10:11]
	s_andn2_b64 exec, exec, s[12:13]
	s_cbranch_execnz .LBB6_4
; %bb.5:
	s_or_b64 exec, exec, s[12:13]
.LBB6_6:
	s_or_b64 exec, exec, s[6:7]
	v_mbcnt_lo_u32_b32 v1, -1, 0
	v_mbcnt_hi_u32_b32 v1, -1, v1
	v_and_b32_e32 v9, 63, v1
	v_cmp_ne_u32_e32 vcc, 63, v9
	s_nop 1
	v_addc_co_u32_e32 v6, vcc, 0, v1, vcc
	v_lshlrev_b32_e32 v11, 2, v6
	ds_bpermute_b32 v6, v11, v4
	ds_bpermute_b32 v7, v11, v5
	ds_bpermute_b32 v10, v11, v2
	ds_bpermute_b32 v11, v11, v3
	v_cmp_gt_u32_e32 vcc, 62, v9
	s_waitcnt lgkmcnt(2)
	v_add_f64 v[4:5], v[4:5], v[6:7]
	v_cndmask_b32_e64 v6, 0, 2, vcc
	s_waitcnt lgkmcnt(0)
	v_add_f64 v[2:3], v[2:3], v[10:11]
	v_add_lshl_u32 v11, v6, v1, 2
	ds_bpermute_b32 v6, v11, v4
	ds_bpermute_b32 v7, v11, v5
	ds_bpermute_b32 v10, v11, v2
	ds_bpermute_b32 v11, v11, v3
	v_cmp_gt_u32_e32 vcc, 60, v9
	s_waitcnt lgkmcnt(2)
	v_add_f64 v[4:5], v[4:5], v[6:7]
	v_cndmask_b32_e64 v6, 0, 4, vcc
	s_waitcnt lgkmcnt(0)
	v_add_f64 v[2:3], v[2:3], v[10:11]
	v_add_lshl_u32 v11, v6, v1, 2
	;; [unrolled: 11-line block ×4, first 2 shown]
	ds_bpermute_b32 v6, v9, v4
	ds_bpermute_b32 v7, v9, v5
	;; [unrolled: 1-line block ×4, first 2 shown]
	s_waitcnt lgkmcnt(2)
	v_add_f64 v[4:5], v[4:5], v[6:7]
	s_waitcnt lgkmcnt(0)
	v_add_f64 v[6:7], v[2:3], v[10:11]
	v_mov_b32_e32 v2, 0x80
	v_lshl_or_b32 v1, v1, 2, v2
	ds_bpermute_b32 v2, v1, v4
	ds_bpermute_b32 v3, v1, v5
	ds_bpermute_b32 v10, v1, v6
	ds_bpermute_b32 v11, v1, v7
	v_and_b32_e32 v1, 63, v0
	v_cmp_eq_u32_e32 vcc, 0, v1
	s_waitcnt lgkmcnt(2)
	v_add_f64 v[2:3], v[4:5], v[2:3]
	s_waitcnt lgkmcnt(0)
	v_add_f64 v[4:5], v[6:7], v[10:11]
	s_and_saveexec_b64 s[6:7], vcc
; %bb.7:
	v_lshrrev_b32_e32 v1, 2, v0
	ds_write_b128 v1, v[2:5]
; %bb.8:
	s_or_b64 exec, exec, s[6:7]
	v_cmp_eq_u32_e32 vcc, 0, v0
	s_waitcnt lgkmcnt(0)
	s_barrier
	s_and_saveexec_b64 s[6:7], vcc
	s_cbranch_execz .LBB6_10
; %bb.9:
	v_mov_b32_e32 v1, 0
	ds_read_b128 v[10:13], v1 offset:16
	s_waitcnt lgkmcnt(0)
	v_add_f64 v[4:5], v[4:5], v[12:13]
	v_add_f64 v[2:3], v[2:3], v[10:11]
	ds_write_b128 v1, v[2:5]
.LBB6_10:
	s_or_b64 exec, exec, s[6:7]
	s_waitcnt lgkmcnt(0)
	s_barrier
	s_and_saveexec_b64 s[12:13], vcc
	s_cbranch_execz .LBB6_18
; %bb.11:
	s_lshl_b64 s[6:7], s[14:15], 4
	s_add_u32 s14, s4, s6
	s_addc_u32 s15, s5, s7
	v_mov_b64_e32 v[2:3], s[14:15]
	flat_load_dwordx2 v[6:7], v[2:3] offset:8
	s_load_dwordx4 s[4:7], s[0:1], 0x58
	v_mov_b32_e32 v4, 0
	ds_read_b64 v[12:13], v4
	s_mov_b64 s[20:21], 0
	s_waitcnt lgkmcnt(0)
	s_mul_i32 s1, s6, s17
	s_mul_hi_u32 s17, s6, s16
	s_mul_i32 s7, s7, s16
	s_add_i32 s1, s17, s1
	s_mul_i32 s0, s6, s16
	s_add_i32 s1, s1, s7
	s_lshl_b64 s[0:1], s[0:1], 4
	s_add_u32 s16, s4, s0
	s_addc_u32 s17, s5, s1
	v_max_f64 v[2:3], v[12:13], v[12:13]
	s_cmp_eq_u64 s[10:11], 0
	s_cselect_b64 s[4:5], -1, 0
	s_cmp_lg_u64 s[10:11], 0
	s_cselect_b64 s[0:1], -1, 0
	s_mov_b64 s[6:7], 0
	s_waitcnt vmcnt(0)
	v_mul_f64 v[10:11], v[6:7], v[6:7]
	v_max_f64 v[2:3], v[2:3], v[10:11]
	v_cmp_nlt_f64_e32 vcc, 0, v[2:3]
                                        ; implicit-def: $vgpr2_vgpr3
	s_and_saveexec_b64 s[18:19], vcc
	s_xor_b64 s[18:19], exec, s[18:19]
	s_cbranch_execz .LBB6_14
; %bb.12:
	v_mov_b32_e32 v5, 0x3ff00000
	v_mov_b32_e32 v6, v4
	;; [unrolled: 1-line block ×3, first 2 shown]
	ds_write_b128 v4, v[4:7]
	v_mov_b32_e32 v5, v4
	s_and_b64 vcc, exec, s[0:1]
	global_store_dwordx4 v4, v[4:7], s[16:17]
	s_cbranch_vccz .LBB6_22
; %bb.13:
	v_mov_b64_e32 v[2:3], s[14:15]
	flat_load_dwordx2 v[2:3], v[2:3]
	s_mov_b64 s[6:7], -1
	s_and_b64 s[6:7], s[6:7], exec
                                        ; implicit-def: $vgpr10_vgpr11
                                        ; implicit-def: $vgpr12_vgpr13
                                        ; implicit-def: $vgpr6_vgpr7
	s_andn2_saveexec_b64 s[18:19], s[18:19]
	s_cbranch_execz .LBB6_23
	s_branch .LBB6_15
.LBB6_14:
	s_andn2_saveexec_b64 s[18:19], s[18:19]
	s_cbranch_execz .LBB6_23
.LBB6_15:
	s_waitcnt vmcnt(0) lgkmcnt(0)
	v_mov_b64_e32 v[2:3], s[14:15]
	flat_load_dwordx2 v[4:5], v[2:3]
	s_mov_b32 s22, 0
	s_brev_b32 s23, 8
	v_mov_b32_e32 v1, 0x100
	v_mov_b32_e32 v9, 0xffffff80
	v_mov_b32_e32 v18, 0x260
	s_and_b64 s[26:27], s[0:1], exec
	s_and_b64 s[20:21], s[4:5], exec
	v_mov_b32_e32 v44, 0
	s_waitcnt vmcnt(0) lgkmcnt(0)
	v_fma_f64 v[2:3], v[4:5], v[4:5], v[10:11]
	v_add_f64 v[2:3], v[12:13], v[2:3]
	v_cmp_gt_f64_e32 vcc, s[22:23], v[2:3]
	s_andn2_b64 s[22:23], s[6:7], exec
	s_nop 0
	v_cndmask_b32_e32 v1, 0, v1, vcc
	v_ldexp_f64 v[2:3], v[2:3], v1
	v_rsq_f64_e32 v[12:13], v[2:3]
	v_cndmask_b32_e32 v1, 0, v9, vcc
	v_cmp_class_f64_e32 vcc, v[2:3], v18
	v_mul_f64 v[14:15], v[2:3], v[12:13]
	v_mul_f64 v[12:13], v[12:13], 0.5
	v_fma_f64 v[16:17], -v[12:13], v[14:15], 0.5
	v_fmac_f64_e32 v[14:15], v[14:15], v[16:17]
	v_fmac_f64_e32 v[12:13], v[12:13], v[16:17]
	v_fma_f64 v[16:17], -v[14:15], v[14:15], v[2:3]
	v_fmac_f64_e32 v[14:15], v[16:17], v[12:13]
	v_fma_f64 v[16:17], -v[14:15], v[14:15], v[2:3]
	v_fmac_f64_e32 v[14:15], v[16:17], v[12:13]
	v_ldexp_f64 v[12:13], v[14:15], v1
	v_cndmask_b32_e32 v1, v13, v3, vcc
	v_cndmask_b32_e32 v2, v12, v2, vcc
	v_xor_b32_e32 v3, 0x80000000, v1
	v_cmp_le_f64_e32 vcc, 0, v[4:5]
	s_nop 1
	v_cndmask_b32_e32 v3, v1, v3, vcc
	v_add_f64 v[12:13], v[4:5], -v[2:3]
	v_add_f64 v[4:5], v[2:3], -v[4:5]
	v_div_scale_f64 v[14:15], s[0:1], v[2:3], v[2:3], -v[6:7]
	v_fmac_f64_e32 v[10:11], v[12:13], v[12:13]
	v_div_scale_f64 v[18:19], s[4:5], v[2:3], v[2:3], v[4:5]
	v_rcp_f64_e32 v[22:23], v[14:15]
	v_div_scale_f64 v[24:25], s[6:7], v[10:11], v[10:11], v[12:13]
	v_div_scale_f64 v[28:29], s[6:7], v[10:11], v[10:11], -v[6:7]
	v_rcp_f64_e32 v[32:33], v[18:19]
	v_rcp_f64_e32 v[34:35], v[24:25]
	v_rcp_f64_e32 v[36:37], v[28:29]
	v_fma_f64 v[38:39], -v[14:15], v[22:23], 1.0
	v_fma_f64 v[40:41], -v[18:19], v[32:33], 1.0
	v_fmac_f64_e32 v[22:23], v[22:23], v[38:39]
	v_fma_f64 v[38:39], -v[24:25], v[34:35], 1.0
	v_fma_f64 v[42:43], -v[28:29], v[36:37], 1.0
	v_fmac_f64_e32 v[32:33], v[32:33], v[40:41]
	v_fma_f64 v[40:41], -v[14:15], v[22:23], 1.0
	v_fmac_f64_e32 v[34:35], v[34:35], v[38:39]
	v_div_scale_f64 v[16:17], s[0:1], -v[6:7], v[2:3], -v[6:7]
	v_fmac_f64_e32 v[36:37], v[36:37], v[42:43]
	v_fma_f64 v[38:39], -v[18:19], v[32:33], 1.0
	v_fmac_f64_e32 v[22:23], v[22:23], v[40:41]
	v_fma_f64 v[40:41], -v[24:25], v[34:35], 1.0
	v_div_scale_f64 v[20:21], s[4:5], v[4:5], v[2:3], v[4:5]
	v_div_scale_f64 v[26:27], vcc, v[12:13], v[10:11], v[12:13]
	v_fma_f64 v[42:43], -v[28:29], v[36:37], 1.0
	v_fmac_f64_e32 v[32:33], v[32:33], v[38:39]
	v_mul_f64 v[38:39], v[16:17], v[22:23]
	v_fmac_f64_e32 v[34:35], v[34:35], v[40:41]
	v_div_scale_f64 v[30:31], s[6:7], -v[6:7], v[10:11], -v[6:7]
	v_fmac_f64_e32 v[36:37], v[36:37], v[42:43]
	v_mul_f64 v[40:41], v[20:21], v[32:33]
	v_fma_f64 v[16:17], -v[14:15], v[38:39], v[16:17]
	v_mul_f64 v[14:15], v[26:27], v[34:35]
	v_mul_f64 v[42:43], v[30:31], v[36:37]
	v_fma_f64 v[18:19], -v[18:19], v[40:41], v[20:21]
	v_fma_f64 v[20:21], -v[24:25], v[14:15], v[26:27]
	;; [unrolled: 1-line block ×3, first 2 shown]
	v_div_fmas_f64 v[14:15], v[20:21], v[34:35], v[14:15]
	s_mov_b64 vcc, s[6:7]
	v_div_fixup_f64 v[12:13], v[14:15], v[10:11], v[12:13]
	v_div_fmas_f64 v[14:15], v[24:25], v[36:37], v[42:43]
	s_mov_b64 vcc, s[4:5]
	v_div_fixup_f64 v[14:15], v[14:15], v[10:11], -v[6:7]
	v_div_fmas_f64 v[10:11], v[18:19], v[32:33], v[40:41]
	s_mov_b64 vcc, s[0:1]
	v_div_fixup_f64 v[4:5], v[10:11], v[2:3], v[4:5]
	v_div_fmas_f64 v[10:11], v[16:17], v[22:23], v[38:39]
	v_div_fixup_f64 v[6:7], v[10:11], v[2:3], -v[6:7]
	ds_write_b128 v44, v[12:15]
	global_store_dwordx4 v44, v[4:7], s[16:17]
	s_or_b64 s[6:7], s[22:23], s[26:27]
	s_or_b64 exec, exec, s[18:19]
	s_and_saveexec_b64 s[0:1], s[6:7]
	s_cbranch_execnz .LBB6_24
.LBB6_16:
	s_or_b64 exec, exec, s[0:1]
	s_and_b64 exec, exec, s[20:21]
	s_cbranch_execz .LBB6_18
.LBB6_17:
	v_mov_b32_e32 v4, 0
	v_mov_b32_e32 v5, v4
	v_mov_b64_e32 v[6:7], s[14:15]
	s_waitcnt vmcnt(0) lgkmcnt(0)
	flat_store_dwordx4 v[6:7], v[2:5]
.LBB6_18:
	s_or_b64 exec, exec, s[12:13]
	s_waitcnt lgkmcnt(0)
	s_barrier
	s_and_saveexec_b64 s[0:1], s[2:3]
	s_cbranch_execz .LBB6_21
; %bb.19:
	v_mov_b32_e32 v1, 0
	s_waitcnt vmcnt(0)
	ds_read_b128 v[2:5], v1
	s_lshl_b32 s2, s25, 7
	s_mov_b64 s[0:1], 0
.LBB6_20:                               ; =>This Inner Loop Header: Depth=1
	v_ashrrev_i32_e32 v9, 31, v8
	v_lshl_add_u64 v[6:7], v[8:9], 4, s[8:9]
	flat_load_dwordx4 v[10:13], v[6:7]
	v_add_u32_e32 v0, 0x80, v0
	v_cmp_le_i32_e32 vcc, s24, v0
	s_or_b64 s[0:1], vcc, s[0:1]
	v_add_u32_e32 v8, s2, v8
	s_waitcnt vmcnt(0) lgkmcnt(0)
	v_mul_f64 v[16:17], v[4:5], v[12:13]
	v_mul_f64 v[14:15], v[2:3], v[12:13]
	v_fma_f64 v[12:13], v[2:3], v[10:11], -v[16:17]
	v_fmac_f64_e32 v[14:15], v[4:5], v[10:11]
	flat_store_dwordx4 v[6:7], v[12:15]
	s_andn2_b64 exec, exec, s[0:1]
	s_cbranch_execnz .LBB6_20
.LBB6_21:
	s_endpgm
.LBB6_22:
                                        ; implicit-def: $vgpr2_vgpr3
	s_and_b64 s[6:7], s[6:7], exec
                                        ; implicit-def: $vgpr10_vgpr11
                                        ; implicit-def: $vgpr12_vgpr13
                                        ; implicit-def: $vgpr6_vgpr7
	s_andn2_saveexec_b64 s[18:19], s[18:19]
	s_cbranch_execnz .LBB6_15
.LBB6_23:
	s_or_b64 exec, exec, s[18:19]
	s_and_saveexec_b64 s[0:1], s[6:7]
	s_cbranch_execz .LBB6_16
.LBB6_24:
	v_mov_b32_e32 v1, 0
	s_waitcnt vmcnt(0) lgkmcnt(0)
	global_store_dwordx2 v1, v[2:3], s[10:11]
	v_mov_b64_e32 v[2:3], 1.0
	s_or_b64 s[20:21], s[20:21], exec
	s_or_b64 exec, exec, s[0:1]
	s_and_b64 exec, exec, s[20:21]
	s_cbranch_execnz .LBB6_17
	s_branch .LBB6_18
	.section	.rodata,"a",@progbits
	.p2align	6, 0x0
	.amdhsa_kernel _ZN9rocsolver6v33100L18larfg_kernel_smallILi128E19rocblas_complex_numIdEidPKPS3_EEvT1_T3_llPT2_llS8_lS7_lPT0_l
		.amdhsa_group_segment_fixed_size 32
		.amdhsa_private_segment_fixed_size 0
		.amdhsa_kernarg_size 104
		.amdhsa_user_sgpr_count 2
		.amdhsa_user_sgpr_dispatch_ptr 0
		.amdhsa_user_sgpr_queue_ptr 0
		.amdhsa_user_sgpr_kernarg_segment_ptr 1
		.amdhsa_user_sgpr_dispatch_id 0
		.amdhsa_user_sgpr_kernarg_preload_length 0
		.amdhsa_user_sgpr_kernarg_preload_offset 0
		.amdhsa_user_sgpr_private_segment_size 0
		.amdhsa_uses_dynamic_stack 0
		.amdhsa_enable_private_segment 0
		.amdhsa_system_sgpr_workgroup_id_x 1
		.amdhsa_system_sgpr_workgroup_id_y 0
		.amdhsa_system_sgpr_workgroup_id_z 1
		.amdhsa_system_sgpr_workgroup_info 0
		.amdhsa_system_vgpr_workitem_id 0
		.amdhsa_next_free_vgpr 45
		.amdhsa_next_free_sgpr 28
		.amdhsa_accum_offset 48
		.amdhsa_reserve_vcc 1
		.amdhsa_float_round_mode_32 0
		.amdhsa_float_round_mode_16_64 0
		.amdhsa_float_denorm_mode_32 3
		.amdhsa_float_denorm_mode_16_64 3
		.amdhsa_dx10_clamp 1
		.amdhsa_ieee_mode 1
		.amdhsa_fp16_overflow 0
		.amdhsa_tg_split 0
		.amdhsa_exception_fp_ieee_invalid_op 0
		.amdhsa_exception_fp_denorm_src 0
		.amdhsa_exception_fp_ieee_div_zero 0
		.amdhsa_exception_fp_ieee_overflow 0
		.amdhsa_exception_fp_ieee_underflow 0
		.amdhsa_exception_fp_ieee_inexact 0
		.amdhsa_exception_int_div_zero 0
	.end_amdhsa_kernel
	.section	.text._ZN9rocsolver6v33100L18larfg_kernel_smallILi128E19rocblas_complex_numIdEidPKPS3_EEvT1_T3_llPT2_llS8_lS7_lPT0_l,"axG",@progbits,_ZN9rocsolver6v33100L18larfg_kernel_smallILi128E19rocblas_complex_numIdEidPKPS3_EEvT1_T3_llPT2_llS8_lS7_lPT0_l,comdat
.Lfunc_end6:
	.size	_ZN9rocsolver6v33100L18larfg_kernel_smallILi128E19rocblas_complex_numIdEidPKPS3_EEvT1_T3_llPT2_llS8_lS7_lPT0_l, .Lfunc_end6-_ZN9rocsolver6v33100L18larfg_kernel_smallILi128E19rocblas_complex_numIdEidPKPS3_EEvT1_T3_llPT2_llS8_lS7_lPT0_l
                                        ; -- End function
	.set _ZN9rocsolver6v33100L18larfg_kernel_smallILi128E19rocblas_complex_numIdEidPKPS3_EEvT1_T3_llPT2_llS8_lS7_lPT0_l.num_vgpr, 45
	.set _ZN9rocsolver6v33100L18larfg_kernel_smallILi128E19rocblas_complex_numIdEidPKPS3_EEvT1_T3_llPT2_llS8_lS7_lPT0_l.num_agpr, 0
	.set _ZN9rocsolver6v33100L18larfg_kernel_smallILi128E19rocblas_complex_numIdEidPKPS3_EEvT1_T3_llPT2_llS8_lS7_lPT0_l.numbered_sgpr, 28
	.set _ZN9rocsolver6v33100L18larfg_kernel_smallILi128E19rocblas_complex_numIdEidPKPS3_EEvT1_T3_llPT2_llS8_lS7_lPT0_l.num_named_barrier, 0
	.set _ZN9rocsolver6v33100L18larfg_kernel_smallILi128E19rocblas_complex_numIdEidPKPS3_EEvT1_T3_llPT2_llS8_lS7_lPT0_l.private_seg_size, 0
	.set _ZN9rocsolver6v33100L18larfg_kernel_smallILi128E19rocblas_complex_numIdEidPKPS3_EEvT1_T3_llPT2_llS8_lS7_lPT0_l.uses_vcc, 1
	.set _ZN9rocsolver6v33100L18larfg_kernel_smallILi128E19rocblas_complex_numIdEidPKPS3_EEvT1_T3_llPT2_llS8_lS7_lPT0_l.uses_flat_scratch, 0
	.set _ZN9rocsolver6v33100L18larfg_kernel_smallILi128E19rocblas_complex_numIdEidPKPS3_EEvT1_T3_llPT2_llS8_lS7_lPT0_l.has_dyn_sized_stack, 0
	.set _ZN9rocsolver6v33100L18larfg_kernel_smallILi128E19rocblas_complex_numIdEidPKPS3_EEvT1_T3_llPT2_llS8_lS7_lPT0_l.has_recursion, 0
	.set _ZN9rocsolver6v33100L18larfg_kernel_smallILi128E19rocblas_complex_numIdEidPKPS3_EEvT1_T3_llPT2_llS8_lS7_lPT0_l.has_indirect_call, 0
	.section	.AMDGPU.csdata,"",@progbits
; Kernel info:
; codeLenInByte = 1956
; TotalNumSgprs: 34
; NumVgprs: 45
; NumAgprs: 0
; TotalNumVgprs: 45
; ScratchSize: 0
; MemoryBound: 0
; FloatMode: 240
; IeeeMode: 1
; LDSByteSize: 32 bytes/workgroup (compile time only)
; SGPRBlocks: 4
; VGPRBlocks: 5
; NumSGPRsForWavesPerEU: 34
; NumVGPRsForWavesPerEU: 45
; AccumOffset: 48
; Occupancy: 8
; WaveLimiterHint : 1
; COMPUTE_PGM_RSRC2:SCRATCH_EN: 0
; COMPUTE_PGM_RSRC2:USER_SGPR: 2
; COMPUTE_PGM_RSRC2:TRAP_HANDLER: 0
; COMPUTE_PGM_RSRC2:TGID_X_EN: 1
; COMPUTE_PGM_RSRC2:TGID_Y_EN: 0
; COMPUTE_PGM_RSRC2:TGID_Z_EN: 1
; COMPUTE_PGM_RSRC2:TIDIG_COMP_CNT: 0
; COMPUTE_PGM_RSRC3_GFX90A:ACCUM_OFFSET: 11
; COMPUTE_PGM_RSRC3_GFX90A:TG_SPLIT: 0
	.section	.text._ZN9rocsolver6v33100L18larfg_kernel_smallILi256E19rocblas_complex_numIdEidPKPS3_EEvT1_T3_llPT2_llS8_lS7_lPT0_l,"axG",@progbits,_ZN9rocsolver6v33100L18larfg_kernel_smallILi256E19rocblas_complex_numIdEidPKPS3_EEvT1_T3_llPT2_llS8_lS7_lPT0_l,comdat
	.globl	_ZN9rocsolver6v33100L18larfg_kernel_smallILi256E19rocblas_complex_numIdEidPKPS3_EEvT1_T3_llPT2_llS8_lS7_lPT0_l ; -- Begin function _ZN9rocsolver6v33100L18larfg_kernel_smallILi256E19rocblas_complex_numIdEidPKPS3_EEvT1_T3_llPT2_llS8_lS7_lPT0_l
	.p2align	8
	.type	_ZN9rocsolver6v33100L18larfg_kernel_smallILi256E19rocblas_complex_numIdEidPKPS3_EEvT1_T3_llPT2_llS8_lS7_lPT0_l,@function
_ZN9rocsolver6v33100L18larfg_kernel_smallILi256E19rocblas_complex_numIdEidPKPS3_EEvT1_T3_llPT2_llS8_lS7_lPT0_l: ; @_ZN9rocsolver6v33100L18larfg_kernel_smallILi256E19rocblas_complex_numIdEidPKPS3_EEvT1_T3_llPT2_llS8_lS7_lPT0_l
; %bb.0:
	s_mov_b32 s16, s3
	s_load_dwordx4 s[12:15], s[0:1], 0x8
	s_load_dwordx8 s[4:11], s[0:1], 0x20
	s_load_dwordx2 s[2:3], s[0:1], 0x40
	s_ashr_i32 s17, s16, 31
	s_lshl_b64 s[18:19], s[16:17], 3
	s_waitcnt lgkmcnt(0)
	s_add_u32 s12, s12, s18
	s_addc_u32 s13, s13, s19
	s_add_u32 s10, s10, s18
	s_addc_u32 s11, s11, s19
	s_load_dwordx2 s[18:19], s[10:11], 0x0
	s_cmp_eq_u64 s[4:5], 0
	s_mov_b64 s[10:11], 0
	s_cbranch_scc1 .LBB7_2
; %bb.1:
	s_mul_i32 s10, s8, s17
	s_mul_hi_u32 s11, s8, s16
	s_add_i32 s10, s11, s10
	s_mul_i32 s9, s9, s16
	s_add_i32 s9, s10, s9
	s_mul_i32 s8, s8, s16
	s_lshl_b64 s[8:9], s[8:9], 3
	s_add_u32 s8, s4, s8
	s_addc_u32 s9, s5, s9
	s_lshl_b64 s[4:5], s[6:7], 3
	s_add_u32 s10, s8, s4
	s_addc_u32 s11, s9, s5
.LBB7_2:
	s_load_dwordx2 s[4:5], s[12:13], 0x0
	s_load_dword s24, s[0:1], 0x0
	s_load_dword s25, s[0:1], 0x48
	s_lshl_b64 s[2:3], s[2:3], 4
	s_waitcnt lgkmcnt(0)
	s_add_u32 s8, s18, s2
	s_addc_u32 s9, s19, s3
	s_add_i32 s24, s24, -1
	v_cmp_gt_i32_e64 s[2:3], s24, v0
	v_mov_b64_e32 v[2:3], 0
	v_mul_lo_u32 v8, v0, s25
	v_mov_b64_e32 v[4:5], 0
	s_and_saveexec_b64 s[6:7], s[2:3]
	s_cbranch_execz .LBB7_6
; %bb.3:
	v_mul_lo_u32 v6, v0, s25
	s_lshl_b32 s18, s25, 8
	v_mov_b64_e32 v[2:3], 0
	s_mov_b64 s[12:13], 0
	v_mov_b32_e32 v1, v0
	v_mov_b64_e32 v[4:5], 0
.LBB7_4:                                ; =>This Inner Loop Header: Depth=1
	v_ashrrev_i32_e32 v7, 31, v6
	v_lshl_add_u64 v[10:11], v[6:7], 4, s[8:9]
	flat_load_dwordx4 v[10:13], v[10:11]
	v_add_u32_e32 v1, 0x100, v1
	v_cmp_le_i32_e32 vcc, s24, v1
	s_or_b64 s[12:13], vcc, s[12:13]
	v_add_u32_e32 v6, s18, v6
	s_waitcnt vmcnt(0) lgkmcnt(0)
	v_mul_f64 v[14:15], v[12:13], v[12:13]
	v_mul_f64 v[16:17], v[10:11], v[12:13]
	v_fmac_f64_e32 v[14:15], v[10:11], v[10:11]
	v_fma_f64 v[10:11], v[10:11], v[12:13], -v[16:17]
	v_add_f64 v[4:5], v[4:5], v[14:15]
	v_add_f64 v[2:3], v[2:3], v[10:11]
	s_andn2_b64 exec, exec, s[12:13]
	s_cbranch_execnz .LBB7_4
; %bb.5:
	s_or_b64 exec, exec, s[12:13]
.LBB7_6:
	s_or_b64 exec, exec, s[6:7]
	v_mbcnt_lo_u32_b32 v1, -1, 0
	v_mbcnt_hi_u32_b32 v1, -1, v1
	v_and_b32_e32 v9, 63, v1
	v_cmp_ne_u32_e32 vcc, 63, v9
	s_nop 1
	v_addc_co_u32_e32 v6, vcc, 0, v1, vcc
	v_lshlrev_b32_e32 v11, 2, v6
	ds_bpermute_b32 v6, v11, v4
	ds_bpermute_b32 v7, v11, v5
	ds_bpermute_b32 v10, v11, v2
	ds_bpermute_b32 v11, v11, v3
	v_cmp_gt_u32_e32 vcc, 62, v9
	s_waitcnt lgkmcnt(2)
	v_add_f64 v[4:5], v[4:5], v[6:7]
	v_cndmask_b32_e64 v6, 0, 2, vcc
	s_waitcnt lgkmcnt(0)
	v_add_f64 v[2:3], v[2:3], v[10:11]
	v_add_lshl_u32 v11, v6, v1, 2
	ds_bpermute_b32 v6, v11, v4
	ds_bpermute_b32 v7, v11, v5
	ds_bpermute_b32 v10, v11, v2
	ds_bpermute_b32 v11, v11, v3
	v_cmp_gt_u32_e32 vcc, 60, v9
	s_waitcnt lgkmcnt(2)
	v_add_f64 v[4:5], v[4:5], v[6:7]
	v_cndmask_b32_e64 v6, 0, 4, vcc
	s_waitcnt lgkmcnt(0)
	v_add_f64 v[2:3], v[2:3], v[10:11]
	v_add_lshl_u32 v11, v6, v1, 2
	;; [unrolled: 11-line block ×4, first 2 shown]
	ds_bpermute_b32 v6, v9, v4
	ds_bpermute_b32 v7, v9, v5
	;; [unrolled: 1-line block ×4, first 2 shown]
	s_waitcnt lgkmcnt(2)
	v_add_f64 v[4:5], v[4:5], v[6:7]
	s_waitcnt lgkmcnt(0)
	v_add_f64 v[6:7], v[2:3], v[10:11]
	v_mov_b32_e32 v2, 0x80
	v_lshl_or_b32 v1, v1, 2, v2
	ds_bpermute_b32 v2, v1, v4
	ds_bpermute_b32 v3, v1, v5
	;; [unrolled: 1-line block ×4, first 2 shown]
	v_and_b32_e32 v1, 63, v0
	v_cmp_eq_u32_e32 vcc, 0, v1
	s_waitcnt lgkmcnt(2)
	v_add_f64 v[2:3], v[4:5], v[2:3]
	s_waitcnt lgkmcnt(0)
	v_add_f64 v[4:5], v[6:7], v[10:11]
	s_and_saveexec_b64 s[6:7], vcc
; %bb.7:
	v_lshrrev_b32_e32 v1, 2, v0
	ds_write_b128 v1, v[2:5]
; %bb.8:
	s_or_b64 exec, exec, s[6:7]
	v_cmp_eq_u32_e32 vcc, 0, v0
	s_waitcnt lgkmcnt(0)
	s_barrier
	s_and_saveexec_b64 s[6:7], vcc
	s_cbranch_execz .LBB7_10
; %bb.9:
	v_mov_b32_e32 v1, 0
	ds_read_b128 v[10:13], v1 offset:16
	ds_read_b128 v[14:17], v1 offset:32
	;; [unrolled: 1-line block ×3, first 2 shown]
	s_waitcnt lgkmcnt(2)
	v_add_f64 v[2:3], v[2:3], v[10:11]
	v_add_f64 v[4:5], v[4:5], v[12:13]
	s_waitcnt lgkmcnt(1)
	v_add_f64 v[2:3], v[2:3], v[14:15]
	v_add_f64 v[4:5], v[4:5], v[16:17]
	;; [unrolled: 3-line block ×3, first 2 shown]
	ds_write_b128 v1, v[2:5]
.LBB7_10:
	s_or_b64 exec, exec, s[6:7]
	s_waitcnt lgkmcnt(0)
	s_barrier
	s_and_saveexec_b64 s[12:13], vcc
	s_cbranch_execz .LBB7_18
; %bb.11:
	s_lshl_b64 s[6:7], s[14:15], 4
	s_add_u32 s14, s4, s6
	s_addc_u32 s15, s5, s7
	v_mov_b64_e32 v[2:3], s[14:15]
	flat_load_dwordx2 v[6:7], v[2:3] offset:8
	s_load_dwordx4 s[4:7], s[0:1], 0x58
	v_mov_b32_e32 v4, 0
	ds_read_b64 v[12:13], v4
	s_mov_b64 s[20:21], 0
	s_waitcnt lgkmcnt(0)
	s_mul_i32 s1, s6, s17
	s_mul_hi_u32 s17, s6, s16
	s_mul_i32 s7, s7, s16
	s_add_i32 s1, s17, s1
	s_mul_i32 s0, s6, s16
	s_add_i32 s1, s1, s7
	s_lshl_b64 s[0:1], s[0:1], 4
	s_add_u32 s16, s4, s0
	s_addc_u32 s17, s5, s1
	v_max_f64 v[2:3], v[12:13], v[12:13]
	s_cmp_eq_u64 s[10:11], 0
	s_cselect_b64 s[4:5], -1, 0
	s_cmp_lg_u64 s[10:11], 0
	s_cselect_b64 s[0:1], -1, 0
	s_mov_b64 s[6:7], 0
	s_waitcnt vmcnt(0)
	v_mul_f64 v[10:11], v[6:7], v[6:7]
	v_max_f64 v[2:3], v[2:3], v[10:11]
	v_cmp_nlt_f64_e32 vcc, 0, v[2:3]
                                        ; implicit-def: $vgpr2_vgpr3
	s_and_saveexec_b64 s[18:19], vcc
	s_xor_b64 s[18:19], exec, s[18:19]
	s_cbranch_execz .LBB7_14
; %bb.12:
	v_mov_b32_e32 v5, 0x3ff00000
	v_mov_b32_e32 v6, v4
	;; [unrolled: 1-line block ×3, first 2 shown]
	ds_write_b128 v4, v[4:7]
	v_mov_b32_e32 v5, v4
	s_and_b64 vcc, exec, s[0:1]
	global_store_dwordx4 v4, v[4:7], s[16:17]
	s_cbranch_vccz .LBB7_22
; %bb.13:
	v_mov_b64_e32 v[2:3], s[14:15]
	flat_load_dwordx2 v[2:3], v[2:3]
	s_mov_b64 s[6:7], -1
	s_and_b64 s[6:7], s[6:7], exec
                                        ; implicit-def: $vgpr10_vgpr11
                                        ; implicit-def: $vgpr12_vgpr13
                                        ; implicit-def: $vgpr6_vgpr7
	s_andn2_saveexec_b64 s[18:19], s[18:19]
	s_cbranch_execz .LBB7_23
	s_branch .LBB7_15
.LBB7_14:
	s_andn2_saveexec_b64 s[18:19], s[18:19]
	s_cbranch_execz .LBB7_23
.LBB7_15:
	s_waitcnt vmcnt(0) lgkmcnt(0)
	v_mov_b64_e32 v[2:3], s[14:15]
	flat_load_dwordx2 v[4:5], v[2:3]
	s_mov_b32 s22, 0
	s_brev_b32 s23, 8
	v_mov_b32_e32 v1, 0x100
	v_mov_b32_e32 v9, 0xffffff80
	;; [unrolled: 1-line block ×3, first 2 shown]
	s_and_b64 s[26:27], s[0:1], exec
	s_and_b64 s[20:21], s[4:5], exec
	v_mov_b32_e32 v44, 0
	s_waitcnt vmcnt(0) lgkmcnt(0)
	v_fma_f64 v[2:3], v[4:5], v[4:5], v[10:11]
	v_add_f64 v[2:3], v[12:13], v[2:3]
	v_cmp_gt_f64_e32 vcc, s[22:23], v[2:3]
	s_andn2_b64 s[22:23], s[6:7], exec
	s_nop 0
	v_cndmask_b32_e32 v1, 0, v1, vcc
	v_ldexp_f64 v[2:3], v[2:3], v1
	v_rsq_f64_e32 v[12:13], v[2:3]
	v_cndmask_b32_e32 v1, 0, v9, vcc
	v_cmp_class_f64_e32 vcc, v[2:3], v18
	v_mul_f64 v[14:15], v[2:3], v[12:13]
	v_mul_f64 v[12:13], v[12:13], 0.5
	v_fma_f64 v[16:17], -v[12:13], v[14:15], 0.5
	v_fmac_f64_e32 v[14:15], v[14:15], v[16:17]
	v_fmac_f64_e32 v[12:13], v[12:13], v[16:17]
	v_fma_f64 v[16:17], -v[14:15], v[14:15], v[2:3]
	v_fmac_f64_e32 v[14:15], v[16:17], v[12:13]
	v_fma_f64 v[16:17], -v[14:15], v[14:15], v[2:3]
	v_fmac_f64_e32 v[14:15], v[16:17], v[12:13]
	v_ldexp_f64 v[12:13], v[14:15], v1
	v_cndmask_b32_e32 v1, v13, v3, vcc
	v_cndmask_b32_e32 v2, v12, v2, vcc
	v_xor_b32_e32 v3, 0x80000000, v1
	v_cmp_le_f64_e32 vcc, 0, v[4:5]
	s_nop 1
	v_cndmask_b32_e32 v3, v1, v3, vcc
	v_add_f64 v[12:13], v[4:5], -v[2:3]
	v_add_f64 v[4:5], v[2:3], -v[4:5]
	v_div_scale_f64 v[14:15], s[0:1], v[2:3], v[2:3], -v[6:7]
	v_fmac_f64_e32 v[10:11], v[12:13], v[12:13]
	v_div_scale_f64 v[18:19], s[4:5], v[2:3], v[2:3], v[4:5]
	v_rcp_f64_e32 v[22:23], v[14:15]
	v_div_scale_f64 v[24:25], s[6:7], v[10:11], v[10:11], v[12:13]
	v_div_scale_f64 v[28:29], s[6:7], v[10:11], v[10:11], -v[6:7]
	v_rcp_f64_e32 v[32:33], v[18:19]
	v_rcp_f64_e32 v[34:35], v[24:25]
	v_rcp_f64_e32 v[36:37], v[28:29]
	v_fma_f64 v[38:39], -v[14:15], v[22:23], 1.0
	v_fma_f64 v[40:41], -v[18:19], v[32:33], 1.0
	v_fmac_f64_e32 v[22:23], v[22:23], v[38:39]
	v_fma_f64 v[38:39], -v[24:25], v[34:35], 1.0
	v_fma_f64 v[42:43], -v[28:29], v[36:37], 1.0
	v_fmac_f64_e32 v[32:33], v[32:33], v[40:41]
	v_fma_f64 v[40:41], -v[14:15], v[22:23], 1.0
	v_fmac_f64_e32 v[34:35], v[34:35], v[38:39]
	v_div_scale_f64 v[16:17], s[0:1], -v[6:7], v[2:3], -v[6:7]
	v_fmac_f64_e32 v[36:37], v[36:37], v[42:43]
	v_fma_f64 v[38:39], -v[18:19], v[32:33], 1.0
	v_fmac_f64_e32 v[22:23], v[22:23], v[40:41]
	v_fma_f64 v[40:41], -v[24:25], v[34:35], 1.0
	v_div_scale_f64 v[20:21], s[4:5], v[4:5], v[2:3], v[4:5]
	v_div_scale_f64 v[26:27], vcc, v[12:13], v[10:11], v[12:13]
	v_fma_f64 v[42:43], -v[28:29], v[36:37], 1.0
	v_fmac_f64_e32 v[32:33], v[32:33], v[38:39]
	v_mul_f64 v[38:39], v[16:17], v[22:23]
	v_fmac_f64_e32 v[34:35], v[34:35], v[40:41]
	v_div_scale_f64 v[30:31], s[6:7], -v[6:7], v[10:11], -v[6:7]
	v_fmac_f64_e32 v[36:37], v[36:37], v[42:43]
	v_mul_f64 v[40:41], v[20:21], v[32:33]
	v_fma_f64 v[16:17], -v[14:15], v[38:39], v[16:17]
	v_mul_f64 v[14:15], v[26:27], v[34:35]
	v_mul_f64 v[42:43], v[30:31], v[36:37]
	v_fma_f64 v[18:19], -v[18:19], v[40:41], v[20:21]
	v_fma_f64 v[20:21], -v[24:25], v[14:15], v[26:27]
	;; [unrolled: 1-line block ×3, first 2 shown]
	v_div_fmas_f64 v[14:15], v[20:21], v[34:35], v[14:15]
	s_mov_b64 vcc, s[6:7]
	v_div_fixup_f64 v[12:13], v[14:15], v[10:11], v[12:13]
	v_div_fmas_f64 v[14:15], v[24:25], v[36:37], v[42:43]
	s_mov_b64 vcc, s[4:5]
	v_div_fixup_f64 v[14:15], v[14:15], v[10:11], -v[6:7]
	v_div_fmas_f64 v[10:11], v[18:19], v[32:33], v[40:41]
	s_mov_b64 vcc, s[0:1]
	v_div_fixup_f64 v[4:5], v[10:11], v[2:3], v[4:5]
	v_div_fmas_f64 v[10:11], v[16:17], v[22:23], v[38:39]
	v_div_fixup_f64 v[6:7], v[10:11], v[2:3], -v[6:7]
	ds_write_b128 v44, v[12:15]
	global_store_dwordx4 v44, v[4:7], s[16:17]
	s_or_b64 s[6:7], s[22:23], s[26:27]
	s_or_b64 exec, exec, s[18:19]
	s_and_saveexec_b64 s[0:1], s[6:7]
	s_cbranch_execnz .LBB7_24
.LBB7_16:
	s_or_b64 exec, exec, s[0:1]
	s_and_b64 exec, exec, s[20:21]
	s_cbranch_execz .LBB7_18
.LBB7_17:
	v_mov_b32_e32 v4, 0
	v_mov_b32_e32 v5, v4
	v_mov_b64_e32 v[6:7], s[14:15]
	s_waitcnt vmcnt(0) lgkmcnt(0)
	flat_store_dwordx4 v[6:7], v[2:5]
.LBB7_18:
	s_or_b64 exec, exec, s[12:13]
	s_waitcnt lgkmcnt(0)
	s_barrier
	s_and_saveexec_b64 s[0:1], s[2:3]
	s_cbranch_execz .LBB7_21
; %bb.19:
	v_mov_b32_e32 v1, 0
	s_waitcnt vmcnt(0)
	ds_read_b128 v[2:5], v1
	s_lshl_b32 s2, s25, 8
	s_mov_b64 s[0:1], 0
.LBB7_20:                               ; =>This Inner Loop Header: Depth=1
	v_ashrrev_i32_e32 v9, 31, v8
	v_lshl_add_u64 v[6:7], v[8:9], 4, s[8:9]
	flat_load_dwordx4 v[10:13], v[6:7]
	v_add_u32_e32 v0, 0x100, v0
	v_cmp_le_i32_e32 vcc, s24, v0
	s_or_b64 s[0:1], vcc, s[0:1]
	v_add_u32_e32 v8, s2, v8
	s_waitcnt vmcnt(0) lgkmcnt(0)
	v_mul_f64 v[16:17], v[4:5], v[12:13]
	v_mul_f64 v[14:15], v[2:3], v[12:13]
	v_fma_f64 v[12:13], v[2:3], v[10:11], -v[16:17]
	v_fmac_f64_e32 v[14:15], v[4:5], v[10:11]
	flat_store_dwordx4 v[6:7], v[12:15]
	s_andn2_b64 exec, exec, s[0:1]
	s_cbranch_execnz .LBB7_20
.LBB7_21:
	s_endpgm
.LBB7_22:
                                        ; implicit-def: $vgpr2_vgpr3
	s_and_b64 s[6:7], s[6:7], exec
                                        ; implicit-def: $vgpr10_vgpr11
                                        ; implicit-def: $vgpr12_vgpr13
                                        ; implicit-def: $vgpr6_vgpr7
	s_andn2_saveexec_b64 s[18:19], s[18:19]
	s_cbranch_execnz .LBB7_15
.LBB7_23:
	s_or_b64 exec, exec, s[18:19]
	s_and_saveexec_b64 s[0:1], s[6:7]
	s_cbranch_execz .LBB7_16
.LBB7_24:
	v_mov_b32_e32 v1, 0
	s_waitcnt vmcnt(0) lgkmcnt(0)
	global_store_dwordx2 v1, v[2:3], s[10:11]
	v_mov_b64_e32 v[2:3], 1.0
	s_or_b64 s[20:21], s[20:21], exec
	s_or_b64 exec, exec, s[0:1]
	s_and_b64 exec, exec, s[20:21]
	s_cbranch_execnz .LBB7_17
	s_branch .LBB7_18
	.section	.rodata,"a",@progbits
	.p2align	6, 0x0
	.amdhsa_kernel _ZN9rocsolver6v33100L18larfg_kernel_smallILi256E19rocblas_complex_numIdEidPKPS3_EEvT1_T3_llPT2_llS8_lS7_lPT0_l
		.amdhsa_group_segment_fixed_size 64
		.amdhsa_private_segment_fixed_size 0
		.amdhsa_kernarg_size 104
		.amdhsa_user_sgpr_count 2
		.amdhsa_user_sgpr_dispatch_ptr 0
		.amdhsa_user_sgpr_queue_ptr 0
		.amdhsa_user_sgpr_kernarg_segment_ptr 1
		.amdhsa_user_sgpr_dispatch_id 0
		.amdhsa_user_sgpr_kernarg_preload_length 0
		.amdhsa_user_sgpr_kernarg_preload_offset 0
		.amdhsa_user_sgpr_private_segment_size 0
		.amdhsa_uses_dynamic_stack 0
		.amdhsa_enable_private_segment 0
		.amdhsa_system_sgpr_workgroup_id_x 1
		.amdhsa_system_sgpr_workgroup_id_y 0
		.amdhsa_system_sgpr_workgroup_id_z 1
		.amdhsa_system_sgpr_workgroup_info 0
		.amdhsa_system_vgpr_workitem_id 0
		.amdhsa_next_free_vgpr 45
		.amdhsa_next_free_sgpr 28
		.amdhsa_accum_offset 48
		.amdhsa_reserve_vcc 1
		.amdhsa_float_round_mode_32 0
		.amdhsa_float_round_mode_16_64 0
		.amdhsa_float_denorm_mode_32 3
		.amdhsa_float_denorm_mode_16_64 3
		.amdhsa_dx10_clamp 1
		.amdhsa_ieee_mode 1
		.amdhsa_fp16_overflow 0
		.amdhsa_tg_split 0
		.amdhsa_exception_fp_ieee_invalid_op 0
		.amdhsa_exception_fp_denorm_src 0
		.amdhsa_exception_fp_ieee_div_zero 0
		.amdhsa_exception_fp_ieee_overflow 0
		.amdhsa_exception_fp_ieee_underflow 0
		.amdhsa_exception_fp_ieee_inexact 0
		.amdhsa_exception_int_div_zero 0
	.end_amdhsa_kernel
	.section	.text._ZN9rocsolver6v33100L18larfg_kernel_smallILi256E19rocblas_complex_numIdEidPKPS3_EEvT1_T3_llPT2_llS8_lS7_lPT0_l,"axG",@progbits,_ZN9rocsolver6v33100L18larfg_kernel_smallILi256E19rocblas_complex_numIdEidPKPS3_EEvT1_T3_llPT2_llS8_lS7_lPT0_l,comdat
.Lfunc_end7:
	.size	_ZN9rocsolver6v33100L18larfg_kernel_smallILi256E19rocblas_complex_numIdEidPKPS3_EEvT1_T3_llPT2_llS8_lS7_lPT0_l, .Lfunc_end7-_ZN9rocsolver6v33100L18larfg_kernel_smallILi256E19rocblas_complex_numIdEidPKPS3_EEvT1_T3_llPT2_llS8_lS7_lPT0_l
                                        ; -- End function
	.set _ZN9rocsolver6v33100L18larfg_kernel_smallILi256E19rocblas_complex_numIdEidPKPS3_EEvT1_T3_llPT2_llS8_lS7_lPT0_l.num_vgpr, 45
	.set _ZN9rocsolver6v33100L18larfg_kernel_smallILi256E19rocblas_complex_numIdEidPKPS3_EEvT1_T3_llPT2_llS8_lS7_lPT0_l.num_agpr, 0
	.set _ZN9rocsolver6v33100L18larfg_kernel_smallILi256E19rocblas_complex_numIdEidPKPS3_EEvT1_T3_llPT2_llS8_lS7_lPT0_l.numbered_sgpr, 28
	.set _ZN9rocsolver6v33100L18larfg_kernel_smallILi256E19rocblas_complex_numIdEidPKPS3_EEvT1_T3_llPT2_llS8_lS7_lPT0_l.num_named_barrier, 0
	.set _ZN9rocsolver6v33100L18larfg_kernel_smallILi256E19rocblas_complex_numIdEidPKPS3_EEvT1_T3_llPT2_llS8_lS7_lPT0_l.private_seg_size, 0
	.set _ZN9rocsolver6v33100L18larfg_kernel_smallILi256E19rocblas_complex_numIdEidPKPS3_EEvT1_T3_llPT2_llS8_lS7_lPT0_l.uses_vcc, 1
	.set _ZN9rocsolver6v33100L18larfg_kernel_smallILi256E19rocblas_complex_numIdEidPKPS3_EEvT1_T3_llPT2_llS8_lS7_lPT0_l.uses_flat_scratch, 0
	.set _ZN9rocsolver6v33100L18larfg_kernel_smallILi256E19rocblas_complex_numIdEidPKPS3_EEvT1_T3_llPT2_llS8_lS7_lPT0_l.has_dyn_sized_stack, 0
	.set _ZN9rocsolver6v33100L18larfg_kernel_smallILi256E19rocblas_complex_numIdEidPKPS3_EEvT1_T3_llPT2_llS8_lS7_lPT0_l.has_recursion, 0
	.set _ZN9rocsolver6v33100L18larfg_kernel_smallILi256E19rocblas_complex_numIdEidPKPS3_EEvT1_T3_llPT2_llS8_lS7_lPT0_l.has_indirect_call, 0
	.section	.AMDGPU.csdata,"",@progbits
; Kernel info:
; codeLenInByte = 2012
; TotalNumSgprs: 34
; NumVgprs: 45
; NumAgprs: 0
; TotalNumVgprs: 45
; ScratchSize: 0
; MemoryBound: 0
; FloatMode: 240
; IeeeMode: 1
; LDSByteSize: 64 bytes/workgroup (compile time only)
; SGPRBlocks: 4
; VGPRBlocks: 5
; NumSGPRsForWavesPerEU: 34
; NumVGPRsForWavesPerEU: 45
; AccumOffset: 48
; Occupancy: 8
; WaveLimiterHint : 1
; COMPUTE_PGM_RSRC2:SCRATCH_EN: 0
; COMPUTE_PGM_RSRC2:USER_SGPR: 2
; COMPUTE_PGM_RSRC2:TRAP_HANDLER: 0
; COMPUTE_PGM_RSRC2:TGID_X_EN: 1
; COMPUTE_PGM_RSRC2:TGID_Y_EN: 0
; COMPUTE_PGM_RSRC2:TGID_Z_EN: 1
; COMPUTE_PGM_RSRC2:TIDIG_COMP_CNT: 0
; COMPUTE_PGM_RSRC3_GFX90A:ACCUM_OFFSET: 11
; COMPUTE_PGM_RSRC3_GFX90A:TG_SPLIT: 0
	.section	.text._ZN9rocsolver6v33100L18larfg_kernel_smallILi512E19rocblas_complex_numIdEidPKPS3_EEvT1_T3_llPT2_llS8_lS7_lPT0_l,"axG",@progbits,_ZN9rocsolver6v33100L18larfg_kernel_smallILi512E19rocblas_complex_numIdEidPKPS3_EEvT1_T3_llPT2_llS8_lS7_lPT0_l,comdat
	.globl	_ZN9rocsolver6v33100L18larfg_kernel_smallILi512E19rocblas_complex_numIdEidPKPS3_EEvT1_T3_llPT2_llS8_lS7_lPT0_l ; -- Begin function _ZN9rocsolver6v33100L18larfg_kernel_smallILi512E19rocblas_complex_numIdEidPKPS3_EEvT1_T3_llPT2_llS8_lS7_lPT0_l
	.p2align	8
	.type	_ZN9rocsolver6v33100L18larfg_kernel_smallILi512E19rocblas_complex_numIdEidPKPS3_EEvT1_T3_llPT2_llS8_lS7_lPT0_l,@function
_ZN9rocsolver6v33100L18larfg_kernel_smallILi512E19rocblas_complex_numIdEidPKPS3_EEvT1_T3_llPT2_llS8_lS7_lPT0_l: ; @_ZN9rocsolver6v33100L18larfg_kernel_smallILi512E19rocblas_complex_numIdEidPKPS3_EEvT1_T3_llPT2_llS8_lS7_lPT0_l
; %bb.0:
	s_mov_b32 s16, s3
	s_load_dwordx4 s[12:15], s[0:1], 0x8
	s_load_dwordx8 s[4:11], s[0:1], 0x20
	s_load_dwordx2 s[2:3], s[0:1], 0x40
	s_ashr_i32 s17, s16, 31
	s_lshl_b64 s[18:19], s[16:17], 3
	s_waitcnt lgkmcnt(0)
	s_add_u32 s12, s12, s18
	s_addc_u32 s13, s13, s19
	s_add_u32 s10, s10, s18
	s_addc_u32 s11, s11, s19
	s_load_dwordx2 s[18:19], s[10:11], 0x0
	s_cmp_eq_u64 s[4:5], 0
	s_mov_b64 s[10:11], 0
	s_cbranch_scc1 .LBB8_2
; %bb.1:
	s_mul_i32 s10, s8, s17
	s_mul_hi_u32 s11, s8, s16
	s_add_i32 s10, s11, s10
	s_mul_i32 s9, s9, s16
	s_add_i32 s9, s10, s9
	s_mul_i32 s8, s8, s16
	s_lshl_b64 s[8:9], s[8:9], 3
	s_add_u32 s8, s4, s8
	s_addc_u32 s9, s5, s9
	s_lshl_b64 s[4:5], s[6:7], 3
	s_add_u32 s10, s8, s4
	s_addc_u32 s11, s9, s5
.LBB8_2:
	s_load_dwordx2 s[4:5], s[12:13], 0x0
	s_load_dword s24, s[0:1], 0x0
	s_load_dword s25, s[0:1], 0x48
	s_lshl_b64 s[2:3], s[2:3], 4
	s_waitcnt lgkmcnt(0)
	s_add_u32 s8, s18, s2
	s_addc_u32 s9, s19, s3
	s_add_i32 s24, s24, -1
	v_cmp_gt_i32_e64 s[2:3], s24, v0
	v_mov_b64_e32 v[2:3], 0
	v_mul_lo_u32 v8, v0, s25
	v_mov_b64_e32 v[4:5], 0
	s_and_saveexec_b64 s[6:7], s[2:3]
	s_cbranch_execz .LBB8_6
; %bb.3:
	v_mul_lo_u32 v6, v0, s25
	s_lshl_b32 s18, s25, 9
	v_mov_b64_e32 v[2:3], 0
	s_mov_b64 s[12:13], 0
	v_mov_b32_e32 v1, v0
	v_mov_b64_e32 v[4:5], 0
.LBB8_4:                                ; =>This Inner Loop Header: Depth=1
	v_ashrrev_i32_e32 v7, 31, v6
	v_lshl_add_u64 v[10:11], v[6:7], 4, s[8:9]
	flat_load_dwordx4 v[10:13], v[10:11]
	v_add_u32_e32 v1, 0x200, v1
	v_cmp_le_i32_e32 vcc, s24, v1
	s_or_b64 s[12:13], vcc, s[12:13]
	v_add_u32_e32 v6, s18, v6
	s_waitcnt vmcnt(0) lgkmcnt(0)
	v_mul_f64 v[14:15], v[12:13], v[12:13]
	v_mul_f64 v[16:17], v[10:11], v[12:13]
	v_fmac_f64_e32 v[14:15], v[10:11], v[10:11]
	v_fma_f64 v[10:11], v[10:11], v[12:13], -v[16:17]
	v_add_f64 v[4:5], v[4:5], v[14:15]
	v_add_f64 v[2:3], v[2:3], v[10:11]
	s_andn2_b64 exec, exec, s[12:13]
	s_cbranch_execnz .LBB8_4
; %bb.5:
	s_or_b64 exec, exec, s[12:13]
.LBB8_6:
	s_or_b64 exec, exec, s[6:7]
	v_mbcnt_lo_u32_b32 v1, -1, 0
	v_mbcnt_hi_u32_b32 v1, -1, v1
	v_and_b32_e32 v9, 63, v1
	v_cmp_ne_u32_e32 vcc, 63, v9
	s_nop 1
	v_addc_co_u32_e32 v6, vcc, 0, v1, vcc
	v_lshlrev_b32_e32 v11, 2, v6
	ds_bpermute_b32 v6, v11, v4
	ds_bpermute_b32 v7, v11, v5
	ds_bpermute_b32 v10, v11, v2
	ds_bpermute_b32 v11, v11, v3
	v_cmp_gt_u32_e32 vcc, 62, v9
	s_waitcnt lgkmcnt(2)
	v_add_f64 v[4:5], v[4:5], v[6:7]
	v_cndmask_b32_e64 v6, 0, 2, vcc
	s_waitcnt lgkmcnt(0)
	v_add_f64 v[2:3], v[2:3], v[10:11]
	v_add_lshl_u32 v11, v6, v1, 2
	ds_bpermute_b32 v6, v11, v4
	ds_bpermute_b32 v7, v11, v5
	ds_bpermute_b32 v10, v11, v2
	ds_bpermute_b32 v11, v11, v3
	v_cmp_gt_u32_e32 vcc, 60, v9
	s_waitcnt lgkmcnt(2)
	v_add_f64 v[4:5], v[4:5], v[6:7]
	v_cndmask_b32_e64 v6, 0, 4, vcc
	s_waitcnt lgkmcnt(0)
	v_add_f64 v[2:3], v[2:3], v[10:11]
	v_add_lshl_u32 v11, v6, v1, 2
	;; [unrolled: 11-line block ×4, first 2 shown]
	ds_bpermute_b32 v6, v9, v4
	ds_bpermute_b32 v7, v9, v5
	;; [unrolled: 1-line block ×4, first 2 shown]
	s_waitcnt lgkmcnt(2)
	v_add_f64 v[4:5], v[4:5], v[6:7]
	s_waitcnt lgkmcnt(0)
	v_add_f64 v[6:7], v[2:3], v[10:11]
	v_mov_b32_e32 v2, 0x80
	v_lshl_or_b32 v1, v1, 2, v2
	ds_bpermute_b32 v2, v1, v4
	ds_bpermute_b32 v3, v1, v5
	ds_bpermute_b32 v10, v1, v6
	ds_bpermute_b32 v11, v1, v7
	v_and_b32_e32 v1, 63, v0
	v_cmp_eq_u32_e32 vcc, 0, v1
	s_waitcnt lgkmcnt(2)
	v_add_f64 v[2:3], v[4:5], v[2:3]
	s_waitcnt lgkmcnt(0)
	v_add_f64 v[4:5], v[6:7], v[10:11]
	s_and_saveexec_b64 s[6:7], vcc
; %bb.7:
	v_lshrrev_b32_e32 v1, 2, v0
	ds_write_b128 v1, v[2:5]
; %bb.8:
	s_or_b64 exec, exec, s[6:7]
	v_cmp_eq_u32_e32 vcc, 0, v0
	s_waitcnt lgkmcnt(0)
	s_barrier
	s_and_saveexec_b64 s[6:7], vcc
	s_cbranch_execz .LBB8_10
; %bb.9:
	v_mov_b32_e32 v1, 0
	ds_read_b128 v[10:13], v1 offset:16
	ds_read_b128 v[14:17], v1 offset:32
	;; [unrolled: 1-line block ×4, first 2 shown]
	s_waitcnt lgkmcnt(3)
	v_add_f64 v[2:3], v[2:3], v[10:11]
	v_add_f64 v[4:5], v[4:5], v[12:13]
	s_waitcnt lgkmcnt(2)
	v_add_f64 v[2:3], v[2:3], v[14:15]
	v_add_f64 v[4:5], v[4:5], v[16:17]
	s_waitcnt lgkmcnt(1)
	v_add_f64 v[6:7], v[2:3], v[18:19]
	v_add_f64 v[14:15], v[4:5], v[20:21]
	ds_read_b128 v[2:5], v1 offset:80
	ds_read_b128 v[10:13], v1 offset:96
	s_waitcnt lgkmcnt(2)
	v_add_f64 v[18:19], v[14:15], v[24:25]
	ds_read_b128 v[14:17], v1 offset:112
	v_add_f64 v[6:7], v[6:7], v[22:23]
	s_waitcnt lgkmcnt(2)
	v_add_f64 v[2:3], v[6:7], v[2:3]
	v_add_f64 v[4:5], v[18:19], v[4:5]
	s_waitcnt lgkmcnt(1)
	v_add_f64 v[2:3], v[2:3], v[10:11]
	;; [unrolled: 3-line block ×3, first 2 shown]
	v_add_f64 v[4:5], v[4:5], v[16:17]
	ds_write_b128 v1, v[2:5]
.LBB8_10:
	s_or_b64 exec, exec, s[6:7]
	s_waitcnt lgkmcnt(0)
	s_barrier
	s_and_saveexec_b64 s[12:13], vcc
	s_cbranch_execz .LBB8_18
; %bb.11:
	s_lshl_b64 s[6:7], s[14:15], 4
	s_add_u32 s14, s4, s6
	s_addc_u32 s15, s5, s7
	v_mov_b64_e32 v[2:3], s[14:15]
	flat_load_dwordx2 v[6:7], v[2:3] offset:8
	s_load_dwordx4 s[4:7], s[0:1], 0x58
	v_mov_b32_e32 v4, 0
	ds_read_b64 v[12:13], v4
	s_mov_b64 s[20:21], 0
	s_waitcnt lgkmcnt(0)
	s_mul_i32 s1, s6, s17
	s_mul_hi_u32 s17, s6, s16
	s_mul_i32 s7, s7, s16
	s_add_i32 s1, s17, s1
	s_mul_i32 s0, s6, s16
	s_add_i32 s1, s1, s7
	s_lshl_b64 s[0:1], s[0:1], 4
	s_add_u32 s16, s4, s0
	s_addc_u32 s17, s5, s1
	v_max_f64 v[2:3], v[12:13], v[12:13]
	s_cmp_eq_u64 s[10:11], 0
	s_cselect_b64 s[4:5], -1, 0
	s_cmp_lg_u64 s[10:11], 0
	s_cselect_b64 s[0:1], -1, 0
	s_mov_b64 s[6:7], 0
	s_waitcnt vmcnt(0)
	v_mul_f64 v[10:11], v[6:7], v[6:7]
	v_max_f64 v[2:3], v[2:3], v[10:11]
	v_cmp_nlt_f64_e32 vcc, 0, v[2:3]
                                        ; implicit-def: $vgpr2_vgpr3
	s_and_saveexec_b64 s[18:19], vcc
	s_xor_b64 s[18:19], exec, s[18:19]
	s_cbranch_execz .LBB8_14
; %bb.12:
	v_mov_b32_e32 v5, 0x3ff00000
	v_mov_b32_e32 v6, v4
	;; [unrolled: 1-line block ×3, first 2 shown]
	ds_write_b128 v4, v[4:7]
	v_mov_b32_e32 v5, v4
	s_and_b64 vcc, exec, s[0:1]
	global_store_dwordx4 v4, v[4:7], s[16:17]
	s_cbranch_vccz .LBB8_22
; %bb.13:
	v_mov_b64_e32 v[2:3], s[14:15]
	flat_load_dwordx2 v[2:3], v[2:3]
	s_mov_b64 s[6:7], -1
	s_and_b64 s[6:7], s[6:7], exec
                                        ; implicit-def: $vgpr10_vgpr11
                                        ; implicit-def: $vgpr12_vgpr13
                                        ; implicit-def: $vgpr6_vgpr7
	s_andn2_saveexec_b64 s[18:19], s[18:19]
	s_cbranch_execz .LBB8_23
	s_branch .LBB8_15
.LBB8_14:
	s_andn2_saveexec_b64 s[18:19], s[18:19]
	s_cbranch_execz .LBB8_23
.LBB8_15:
	s_waitcnt vmcnt(0) lgkmcnt(0)
	v_mov_b64_e32 v[2:3], s[14:15]
	flat_load_dwordx2 v[4:5], v[2:3]
	s_mov_b32 s22, 0
	s_brev_b32 s23, 8
	v_mov_b32_e32 v1, 0x100
	v_mov_b32_e32 v9, 0xffffff80
	;; [unrolled: 1-line block ×3, first 2 shown]
	s_and_b64 s[26:27], s[0:1], exec
	s_and_b64 s[20:21], s[4:5], exec
	v_mov_b32_e32 v44, 0
	s_waitcnt vmcnt(0) lgkmcnt(0)
	v_fma_f64 v[2:3], v[4:5], v[4:5], v[10:11]
	v_add_f64 v[2:3], v[12:13], v[2:3]
	v_cmp_gt_f64_e32 vcc, s[22:23], v[2:3]
	s_andn2_b64 s[22:23], s[6:7], exec
	s_nop 0
	v_cndmask_b32_e32 v1, 0, v1, vcc
	v_ldexp_f64 v[2:3], v[2:3], v1
	v_rsq_f64_e32 v[12:13], v[2:3]
	v_cndmask_b32_e32 v1, 0, v9, vcc
	v_cmp_class_f64_e32 vcc, v[2:3], v18
	v_mul_f64 v[14:15], v[2:3], v[12:13]
	v_mul_f64 v[12:13], v[12:13], 0.5
	v_fma_f64 v[16:17], -v[12:13], v[14:15], 0.5
	v_fmac_f64_e32 v[14:15], v[14:15], v[16:17]
	v_fmac_f64_e32 v[12:13], v[12:13], v[16:17]
	v_fma_f64 v[16:17], -v[14:15], v[14:15], v[2:3]
	v_fmac_f64_e32 v[14:15], v[16:17], v[12:13]
	v_fma_f64 v[16:17], -v[14:15], v[14:15], v[2:3]
	v_fmac_f64_e32 v[14:15], v[16:17], v[12:13]
	v_ldexp_f64 v[12:13], v[14:15], v1
	v_cndmask_b32_e32 v1, v13, v3, vcc
	v_cndmask_b32_e32 v2, v12, v2, vcc
	v_xor_b32_e32 v3, 0x80000000, v1
	v_cmp_le_f64_e32 vcc, 0, v[4:5]
	s_nop 1
	v_cndmask_b32_e32 v3, v1, v3, vcc
	v_add_f64 v[12:13], v[4:5], -v[2:3]
	v_add_f64 v[4:5], v[2:3], -v[4:5]
	v_div_scale_f64 v[14:15], s[0:1], v[2:3], v[2:3], -v[6:7]
	v_fmac_f64_e32 v[10:11], v[12:13], v[12:13]
	v_div_scale_f64 v[18:19], s[4:5], v[2:3], v[2:3], v[4:5]
	v_rcp_f64_e32 v[22:23], v[14:15]
	v_div_scale_f64 v[24:25], s[6:7], v[10:11], v[10:11], v[12:13]
	v_div_scale_f64 v[28:29], s[6:7], v[10:11], v[10:11], -v[6:7]
	v_rcp_f64_e32 v[32:33], v[18:19]
	v_rcp_f64_e32 v[34:35], v[24:25]
	;; [unrolled: 1-line block ×3, first 2 shown]
	v_fma_f64 v[38:39], -v[14:15], v[22:23], 1.0
	v_fma_f64 v[40:41], -v[18:19], v[32:33], 1.0
	v_fmac_f64_e32 v[22:23], v[22:23], v[38:39]
	v_fma_f64 v[38:39], -v[24:25], v[34:35], 1.0
	v_fma_f64 v[42:43], -v[28:29], v[36:37], 1.0
	v_fmac_f64_e32 v[32:33], v[32:33], v[40:41]
	v_fma_f64 v[40:41], -v[14:15], v[22:23], 1.0
	v_fmac_f64_e32 v[34:35], v[34:35], v[38:39]
	v_div_scale_f64 v[16:17], s[0:1], -v[6:7], v[2:3], -v[6:7]
	v_fmac_f64_e32 v[36:37], v[36:37], v[42:43]
	v_fma_f64 v[38:39], -v[18:19], v[32:33], 1.0
	v_fmac_f64_e32 v[22:23], v[22:23], v[40:41]
	v_fma_f64 v[40:41], -v[24:25], v[34:35], 1.0
	v_div_scale_f64 v[20:21], s[4:5], v[4:5], v[2:3], v[4:5]
	v_div_scale_f64 v[26:27], vcc, v[12:13], v[10:11], v[12:13]
	v_fma_f64 v[42:43], -v[28:29], v[36:37], 1.0
	v_fmac_f64_e32 v[32:33], v[32:33], v[38:39]
	v_mul_f64 v[38:39], v[16:17], v[22:23]
	v_fmac_f64_e32 v[34:35], v[34:35], v[40:41]
	v_div_scale_f64 v[30:31], s[6:7], -v[6:7], v[10:11], -v[6:7]
	v_fmac_f64_e32 v[36:37], v[36:37], v[42:43]
	v_mul_f64 v[40:41], v[20:21], v[32:33]
	v_fma_f64 v[16:17], -v[14:15], v[38:39], v[16:17]
	v_mul_f64 v[14:15], v[26:27], v[34:35]
	v_mul_f64 v[42:43], v[30:31], v[36:37]
	v_fma_f64 v[18:19], -v[18:19], v[40:41], v[20:21]
	v_fma_f64 v[20:21], -v[24:25], v[14:15], v[26:27]
	;; [unrolled: 1-line block ×3, first 2 shown]
	v_div_fmas_f64 v[14:15], v[20:21], v[34:35], v[14:15]
	s_mov_b64 vcc, s[6:7]
	v_div_fixup_f64 v[12:13], v[14:15], v[10:11], v[12:13]
	v_div_fmas_f64 v[14:15], v[24:25], v[36:37], v[42:43]
	s_mov_b64 vcc, s[4:5]
	v_div_fixup_f64 v[14:15], v[14:15], v[10:11], -v[6:7]
	v_div_fmas_f64 v[10:11], v[18:19], v[32:33], v[40:41]
	s_mov_b64 vcc, s[0:1]
	v_div_fixup_f64 v[4:5], v[10:11], v[2:3], v[4:5]
	v_div_fmas_f64 v[10:11], v[16:17], v[22:23], v[38:39]
	v_div_fixup_f64 v[6:7], v[10:11], v[2:3], -v[6:7]
	ds_write_b128 v44, v[12:15]
	global_store_dwordx4 v44, v[4:7], s[16:17]
	s_or_b64 s[6:7], s[22:23], s[26:27]
	s_or_b64 exec, exec, s[18:19]
	s_and_saveexec_b64 s[0:1], s[6:7]
	s_cbranch_execnz .LBB8_24
.LBB8_16:
	s_or_b64 exec, exec, s[0:1]
	s_and_b64 exec, exec, s[20:21]
	s_cbranch_execz .LBB8_18
.LBB8_17:
	v_mov_b32_e32 v4, 0
	v_mov_b32_e32 v5, v4
	v_mov_b64_e32 v[6:7], s[14:15]
	s_waitcnt vmcnt(0) lgkmcnt(0)
	flat_store_dwordx4 v[6:7], v[2:5]
.LBB8_18:
	s_or_b64 exec, exec, s[12:13]
	s_waitcnt lgkmcnt(0)
	s_barrier
	s_and_saveexec_b64 s[0:1], s[2:3]
	s_cbranch_execz .LBB8_21
; %bb.19:
	v_mov_b32_e32 v1, 0
	s_waitcnt vmcnt(0)
	ds_read_b128 v[2:5], v1
	s_lshl_b32 s2, s25, 9
	s_mov_b64 s[0:1], 0
.LBB8_20:                               ; =>This Inner Loop Header: Depth=1
	v_ashrrev_i32_e32 v9, 31, v8
	v_lshl_add_u64 v[6:7], v[8:9], 4, s[8:9]
	flat_load_dwordx4 v[10:13], v[6:7]
	v_add_u32_e32 v0, 0x200, v0
	v_cmp_le_i32_e32 vcc, s24, v0
	s_or_b64 s[0:1], vcc, s[0:1]
	v_add_u32_e32 v8, s2, v8
	s_waitcnt vmcnt(0) lgkmcnt(0)
	v_mul_f64 v[16:17], v[4:5], v[12:13]
	v_mul_f64 v[14:15], v[2:3], v[12:13]
	v_fma_f64 v[12:13], v[2:3], v[10:11], -v[16:17]
	v_fmac_f64_e32 v[14:15], v[4:5], v[10:11]
	flat_store_dwordx4 v[6:7], v[12:15]
	s_andn2_b64 exec, exec, s[0:1]
	s_cbranch_execnz .LBB8_20
.LBB8_21:
	s_endpgm
.LBB8_22:
                                        ; implicit-def: $vgpr2_vgpr3
	s_and_b64 s[6:7], s[6:7], exec
                                        ; implicit-def: $vgpr10_vgpr11
                                        ; implicit-def: $vgpr12_vgpr13
                                        ; implicit-def: $vgpr6_vgpr7
	s_andn2_saveexec_b64 s[18:19], s[18:19]
	s_cbranch_execnz .LBB8_15
.LBB8_23:
	s_or_b64 exec, exec, s[18:19]
	s_and_saveexec_b64 s[0:1], s[6:7]
	s_cbranch_execz .LBB8_16
.LBB8_24:
	v_mov_b32_e32 v1, 0
	s_waitcnt vmcnt(0) lgkmcnt(0)
	global_store_dwordx2 v1, v[2:3], s[10:11]
	v_mov_b64_e32 v[2:3], 1.0
	s_or_b64 s[20:21], s[20:21], exec
	s_or_b64 exec, exec, s[0:1]
	s_and_b64 exec, exec, s[20:21]
	s_cbranch_execnz .LBB8_17
	s_branch .LBB8_18
	.section	.rodata,"a",@progbits
	.p2align	6, 0x0
	.amdhsa_kernel _ZN9rocsolver6v33100L18larfg_kernel_smallILi512E19rocblas_complex_numIdEidPKPS3_EEvT1_T3_llPT2_llS8_lS7_lPT0_l
		.amdhsa_group_segment_fixed_size 128
		.amdhsa_private_segment_fixed_size 0
		.amdhsa_kernarg_size 104
		.amdhsa_user_sgpr_count 2
		.amdhsa_user_sgpr_dispatch_ptr 0
		.amdhsa_user_sgpr_queue_ptr 0
		.amdhsa_user_sgpr_kernarg_segment_ptr 1
		.amdhsa_user_sgpr_dispatch_id 0
		.amdhsa_user_sgpr_kernarg_preload_length 0
		.amdhsa_user_sgpr_kernarg_preload_offset 0
		.amdhsa_user_sgpr_private_segment_size 0
		.amdhsa_uses_dynamic_stack 0
		.amdhsa_enable_private_segment 0
		.amdhsa_system_sgpr_workgroup_id_x 1
		.amdhsa_system_sgpr_workgroup_id_y 0
		.amdhsa_system_sgpr_workgroup_id_z 1
		.amdhsa_system_sgpr_workgroup_info 0
		.amdhsa_system_vgpr_workitem_id 0
		.amdhsa_next_free_vgpr 45
		.amdhsa_next_free_sgpr 28
		.amdhsa_accum_offset 48
		.amdhsa_reserve_vcc 1
		.amdhsa_float_round_mode_32 0
		.amdhsa_float_round_mode_16_64 0
		.amdhsa_float_denorm_mode_32 3
		.amdhsa_float_denorm_mode_16_64 3
		.amdhsa_dx10_clamp 1
		.amdhsa_ieee_mode 1
		.amdhsa_fp16_overflow 0
		.amdhsa_tg_split 0
		.amdhsa_exception_fp_ieee_invalid_op 0
		.amdhsa_exception_fp_denorm_src 0
		.amdhsa_exception_fp_ieee_div_zero 0
		.amdhsa_exception_fp_ieee_overflow 0
		.amdhsa_exception_fp_ieee_underflow 0
		.amdhsa_exception_fp_ieee_inexact 0
		.amdhsa_exception_int_div_zero 0
	.end_amdhsa_kernel
	.section	.text._ZN9rocsolver6v33100L18larfg_kernel_smallILi512E19rocblas_complex_numIdEidPKPS3_EEvT1_T3_llPT2_llS8_lS7_lPT0_l,"axG",@progbits,_ZN9rocsolver6v33100L18larfg_kernel_smallILi512E19rocblas_complex_numIdEidPKPS3_EEvT1_T3_llPT2_llS8_lS7_lPT0_l,comdat
.Lfunc_end8:
	.size	_ZN9rocsolver6v33100L18larfg_kernel_smallILi512E19rocblas_complex_numIdEidPKPS3_EEvT1_T3_llPT2_llS8_lS7_lPT0_l, .Lfunc_end8-_ZN9rocsolver6v33100L18larfg_kernel_smallILi512E19rocblas_complex_numIdEidPKPS3_EEvT1_T3_llPT2_llS8_lS7_lPT0_l
                                        ; -- End function
	.set _ZN9rocsolver6v33100L18larfg_kernel_smallILi512E19rocblas_complex_numIdEidPKPS3_EEvT1_T3_llPT2_llS8_lS7_lPT0_l.num_vgpr, 45
	.set _ZN9rocsolver6v33100L18larfg_kernel_smallILi512E19rocblas_complex_numIdEidPKPS3_EEvT1_T3_llPT2_llS8_lS7_lPT0_l.num_agpr, 0
	.set _ZN9rocsolver6v33100L18larfg_kernel_smallILi512E19rocblas_complex_numIdEidPKPS3_EEvT1_T3_llPT2_llS8_lS7_lPT0_l.numbered_sgpr, 28
	.set _ZN9rocsolver6v33100L18larfg_kernel_smallILi512E19rocblas_complex_numIdEidPKPS3_EEvT1_T3_llPT2_llS8_lS7_lPT0_l.num_named_barrier, 0
	.set _ZN9rocsolver6v33100L18larfg_kernel_smallILi512E19rocblas_complex_numIdEidPKPS3_EEvT1_T3_llPT2_llS8_lS7_lPT0_l.private_seg_size, 0
	.set _ZN9rocsolver6v33100L18larfg_kernel_smallILi512E19rocblas_complex_numIdEidPKPS3_EEvT1_T3_llPT2_llS8_lS7_lPT0_l.uses_vcc, 1
	.set _ZN9rocsolver6v33100L18larfg_kernel_smallILi512E19rocblas_complex_numIdEidPKPS3_EEvT1_T3_llPT2_llS8_lS7_lPT0_l.uses_flat_scratch, 0
	.set _ZN9rocsolver6v33100L18larfg_kernel_smallILi512E19rocblas_complex_numIdEidPKPS3_EEvT1_T3_llPT2_llS8_lS7_lPT0_l.has_dyn_sized_stack, 0
	.set _ZN9rocsolver6v33100L18larfg_kernel_smallILi512E19rocblas_complex_numIdEidPKPS3_EEvT1_T3_llPT2_llS8_lS7_lPT0_l.has_recursion, 0
	.set _ZN9rocsolver6v33100L18larfg_kernel_smallILi512E19rocblas_complex_numIdEidPKPS3_EEvT1_T3_llPT2_llS8_lS7_lPT0_l.has_indirect_call, 0
	.section	.AMDGPU.csdata,"",@progbits
; Kernel info:
; codeLenInByte = 2124
; TotalNumSgprs: 34
; NumVgprs: 45
; NumAgprs: 0
; TotalNumVgprs: 45
; ScratchSize: 0
; MemoryBound: 0
; FloatMode: 240
; IeeeMode: 1
; LDSByteSize: 128 bytes/workgroup (compile time only)
; SGPRBlocks: 4
; VGPRBlocks: 5
; NumSGPRsForWavesPerEU: 34
; NumVGPRsForWavesPerEU: 45
; AccumOffset: 48
; Occupancy: 8
; WaveLimiterHint : 1
; COMPUTE_PGM_RSRC2:SCRATCH_EN: 0
; COMPUTE_PGM_RSRC2:USER_SGPR: 2
; COMPUTE_PGM_RSRC2:TRAP_HANDLER: 0
; COMPUTE_PGM_RSRC2:TGID_X_EN: 1
; COMPUTE_PGM_RSRC2:TGID_Y_EN: 0
; COMPUTE_PGM_RSRC2:TGID_Z_EN: 1
; COMPUTE_PGM_RSRC2:TIDIG_COMP_CNT: 0
; COMPUTE_PGM_RSRC3_GFX90A:ACCUM_OFFSET: 11
; COMPUTE_PGM_RSRC3_GFX90A:TG_SPLIT: 0
	.section	.text._ZN9rocsolver6v33100L18larfg_kernel_smallILi1024E19rocblas_complex_numIdEidPKPS3_EEvT1_T3_llPT2_llS8_lS7_lPT0_l,"axG",@progbits,_ZN9rocsolver6v33100L18larfg_kernel_smallILi1024E19rocblas_complex_numIdEidPKPS3_EEvT1_T3_llPT2_llS8_lS7_lPT0_l,comdat
	.globl	_ZN9rocsolver6v33100L18larfg_kernel_smallILi1024E19rocblas_complex_numIdEidPKPS3_EEvT1_T3_llPT2_llS8_lS7_lPT0_l ; -- Begin function _ZN9rocsolver6v33100L18larfg_kernel_smallILi1024E19rocblas_complex_numIdEidPKPS3_EEvT1_T3_llPT2_llS8_lS7_lPT0_l
	.p2align	8
	.type	_ZN9rocsolver6v33100L18larfg_kernel_smallILi1024E19rocblas_complex_numIdEidPKPS3_EEvT1_T3_llPT2_llS8_lS7_lPT0_l,@function
_ZN9rocsolver6v33100L18larfg_kernel_smallILi1024E19rocblas_complex_numIdEidPKPS3_EEvT1_T3_llPT2_llS8_lS7_lPT0_l: ; @_ZN9rocsolver6v33100L18larfg_kernel_smallILi1024E19rocblas_complex_numIdEidPKPS3_EEvT1_T3_llPT2_llS8_lS7_lPT0_l
; %bb.0:
	s_mov_b32 s16, s3
	s_load_dwordx4 s[12:15], s[0:1], 0x8
	s_load_dwordx8 s[4:11], s[0:1], 0x20
	s_load_dwordx2 s[2:3], s[0:1], 0x40
	s_ashr_i32 s17, s16, 31
	s_lshl_b64 s[18:19], s[16:17], 3
	s_waitcnt lgkmcnt(0)
	s_add_u32 s12, s12, s18
	s_addc_u32 s13, s13, s19
	s_add_u32 s10, s10, s18
	s_addc_u32 s11, s11, s19
	s_load_dwordx2 s[18:19], s[10:11], 0x0
	s_cmp_eq_u64 s[4:5], 0
	s_mov_b64 s[10:11], 0
	s_cbranch_scc1 .LBB9_2
; %bb.1:
	s_mul_i32 s10, s8, s17
	s_mul_hi_u32 s11, s8, s16
	s_add_i32 s10, s11, s10
	s_mul_i32 s9, s9, s16
	s_add_i32 s9, s10, s9
	s_mul_i32 s8, s8, s16
	s_lshl_b64 s[8:9], s[8:9], 3
	s_add_u32 s8, s4, s8
	s_addc_u32 s9, s5, s9
	s_lshl_b64 s[4:5], s[6:7], 3
	s_add_u32 s10, s8, s4
	s_addc_u32 s11, s9, s5
.LBB9_2:
	s_load_dwordx2 s[4:5], s[12:13], 0x0
	s_load_dword s24, s[0:1], 0x0
	s_load_dword s25, s[0:1], 0x48
	s_lshl_b64 s[2:3], s[2:3], 4
	s_waitcnt lgkmcnt(0)
	s_add_u32 s8, s18, s2
	s_addc_u32 s9, s19, s3
	s_add_i32 s24, s24, -1
	v_cmp_gt_i32_e64 s[2:3], s24, v0
	v_mov_b64_e32 v[2:3], 0
	v_mul_lo_u32 v8, v0, s25
	v_mov_b64_e32 v[4:5], 0
	s_and_saveexec_b64 s[6:7], s[2:3]
	s_cbranch_execz .LBB9_6
; %bb.3:
	v_mul_lo_u32 v6, v0, s25
	s_lshl_b32 s18, s25, 10
	v_mov_b64_e32 v[2:3], 0
	s_mov_b64 s[12:13], 0
	v_mov_b32_e32 v1, v0
	v_mov_b64_e32 v[4:5], 0
.LBB9_4:                                ; =>This Inner Loop Header: Depth=1
	v_ashrrev_i32_e32 v7, 31, v6
	v_lshl_add_u64 v[10:11], v[6:7], 4, s[8:9]
	flat_load_dwordx4 v[10:13], v[10:11]
	v_add_u32_e32 v1, 0x400, v1
	v_cmp_le_i32_e32 vcc, s24, v1
	s_or_b64 s[12:13], vcc, s[12:13]
	v_add_u32_e32 v6, s18, v6
	s_waitcnt vmcnt(0) lgkmcnt(0)
	v_mul_f64 v[14:15], v[12:13], v[12:13]
	v_mul_f64 v[16:17], v[10:11], v[12:13]
	v_fmac_f64_e32 v[14:15], v[10:11], v[10:11]
	v_fma_f64 v[10:11], v[10:11], v[12:13], -v[16:17]
	v_add_f64 v[4:5], v[4:5], v[14:15]
	v_add_f64 v[2:3], v[2:3], v[10:11]
	s_andn2_b64 exec, exec, s[12:13]
	s_cbranch_execnz .LBB9_4
; %bb.5:
	s_or_b64 exec, exec, s[12:13]
.LBB9_6:
	s_or_b64 exec, exec, s[6:7]
	v_mbcnt_lo_u32_b32 v1, -1, 0
	v_mbcnt_hi_u32_b32 v1, -1, v1
	v_and_b32_e32 v9, 63, v1
	v_cmp_ne_u32_e32 vcc, 63, v9
	s_nop 1
	v_addc_co_u32_e32 v6, vcc, 0, v1, vcc
	v_lshlrev_b32_e32 v11, 2, v6
	ds_bpermute_b32 v6, v11, v4
	ds_bpermute_b32 v7, v11, v5
	ds_bpermute_b32 v10, v11, v2
	ds_bpermute_b32 v11, v11, v3
	v_cmp_gt_u32_e32 vcc, 62, v9
	s_waitcnt lgkmcnt(2)
	v_add_f64 v[4:5], v[4:5], v[6:7]
	v_cndmask_b32_e64 v6, 0, 2, vcc
	s_waitcnt lgkmcnt(0)
	v_add_f64 v[2:3], v[2:3], v[10:11]
	v_add_lshl_u32 v11, v6, v1, 2
	ds_bpermute_b32 v6, v11, v4
	ds_bpermute_b32 v7, v11, v5
	ds_bpermute_b32 v10, v11, v2
	ds_bpermute_b32 v11, v11, v3
	v_cmp_gt_u32_e32 vcc, 60, v9
	s_waitcnt lgkmcnt(2)
	v_add_f64 v[4:5], v[4:5], v[6:7]
	v_cndmask_b32_e64 v6, 0, 4, vcc
	s_waitcnt lgkmcnt(0)
	v_add_f64 v[2:3], v[2:3], v[10:11]
	v_add_lshl_u32 v11, v6, v1, 2
	ds_bpermute_b32 v6, v11, v4
	ds_bpermute_b32 v7, v11, v5
	ds_bpermute_b32 v10, v11, v2
	ds_bpermute_b32 v11, v11, v3
	v_cmp_gt_u32_e32 vcc, 56, v9
	s_waitcnt lgkmcnt(2)
	v_add_f64 v[4:5], v[4:5], v[6:7]
	v_cndmask_b32_e64 v6, 0, 8, vcc
	s_waitcnt lgkmcnt(0)
	v_add_f64 v[2:3], v[2:3], v[10:11]
	v_add_lshl_u32 v11, v6, v1, 2
	ds_bpermute_b32 v6, v11, v4
	ds_bpermute_b32 v7, v11, v5
	ds_bpermute_b32 v10, v11, v2
	ds_bpermute_b32 v11, v11, v3
	v_cmp_gt_u32_e32 vcc, 48, v9
	s_waitcnt lgkmcnt(2)
	v_add_f64 v[4:5], v[4:5], v[6:7]
	v_cndmask_b32_e64 v6, 0, 16, vcc
	s_waitcnt lgkmcnt(0)
	v_add_f64 v[2:3], v[2:3], v[10:11]
	v_add_lshl_u32 v9, v6, v1, 2
	ds_bpermute_b32 v6, v9, v4
	ds_bpermute_b32 v7, v9, v5
	;; [unrolled: 1-line block ×4, first 2 shown]
	s_waitcnt lgkmcnt(2)
	v_add_f64 v[4:5], v[4:5], v[6:7]
	s_waitcnt lgkmcnt(0)
	v_add_f64 v[6:7], v[2:3], v[10:11]
	v_mov_b32_e32 v2, 0x80
	v_lshl_or_b32 v1, v1, 2, v2
	ds_bpermute_b32 v2, v1, v4
	ds_bpermute_b32 v3, v1, v5
	;; [unrolled: 1-line block ×4, first 2 shown]
	v_and_b32_e32 v1, 63, v0
	v_cmp_eq_u32_e32 vcc, 0, v1
	s_waitcnt lgkmcnt(2)
	v_add_f64 v[2:3], v[4:5], v[2:3]
	s_waitcnt lgkmcnt(0)
	v_add_f64 v[4:5], v[6:7], v[10:11]
	s_and_saveexec_b64 s[6:7], vcc
; %bb.7:
	v_lshrrev_b32_e32 v1, 2, v0
	ds_write_b128 v1, v[2:5]
; %bb.8:
	s_or_b64 exec, exec, s[6:7]
	v_cmp_eq_u32_e32 vcc, 0, v0
	s_waitcnt lgkmcnt(0)
	s_barrier
	s_and_saveexec_b64 s[6:7], vcc
	s_cbranch_execz .LBB9_10
; %bb.9:
	v_mov_b32_e32 v1, 0
	ds_read_b128 v[10:13], v1 offset:16
	ds_read_b128 v[14:17], v1 offset:32
	;; [unrolled: 1-line block ×4, first 2 shown]
	s_waitcnt lgkmcnt(3)
	v_add_f64 v[2:3], v[2:3], v[10:11]
	v_add_f64 v[4:5], v[4:5], v[12:13]
	s_waitcnt lgkmcnt(2)
	v_add_f64 v[2:3], v[2:3], v[14:15]
	v_add_f64 v[6:7], v[4:5], v[16:17]
	s_waitcnt lgkmcnt(1)
	v_add_f64 v[10:11], v[2:3], v[18:19]
	ds_read_b128 v[2:5], v1 offset:80
	s_waitcnt lgkmcnt(1)
	v_add_f64 v[14:15], v[10:11], v[22:23]
	ds_read_b128 v[10:13], v1 offset:96
	v_add_f64 v[6:7], v[6:7], v[20:21]
	v_add_f64 v[6:7], v[6:7], v[24:25]
	s_waitcnt lgkmcnt(1)
	v_add_f64 v[2:3], v[14:15], v[2:3]
	ds_read_b128 v[14:17], v1 offset:112
	v_add_f64 v[6:7], v[6:7], v[4:5]
	s_waitcnt lgkmcnt(1)
	v_add_f64 v[10:11], v[2:3], v[10:11]
	ds_read_b128 v[2:5], v1 offset:128
	;; [unrolled: 4-line block ×6, first 2 shown]
	v_add_f64 v[6:7], v[6:7], v[16:17]
	s_waitcnt lgkmcnt(1)
	v_add_f64 v[14:15], v[14:15], v[2:3]
	v_add_f64 v[6:7], v[6:7], v[4:5]
	ds_read_b128 v[2:5], v1 offset:208
	s_waitcnt lgkmcnt(1)
	v_add_f64 v[18:19], v[14:15], v[10:11]
	ds_read_b128 v[14:17], v1 offset:224
	v_add_f64 v[6:7], v[6:7], v[12:13]
	ds_read_b128 v[10:13], v1 offset:240
	s_waitcnt lgkmcnt(2)
	v_add_f64 v[2:3], v[18:19], v[2:3]
	v_add_f64 v[4:5], v[6:7], v[4:5]
	s_waitcnt lgkmcnt(1)
	v_add_f64 v[2:3], v[2:3], v[14:15]
	v_add_f64 v[4:5], v[4:5], v[16:17]
	;; [unrolled: 3-line block ×3, first 2 shown]
	ds_write_b128 v1, v[2:5]
.LBB9_10:
	s_or_b64 exec, exec, s[6:7]
	s_waitcnt lgkmcnt(0)
	s_barrier
	s_and_saveexec_b64 s[12:13], vcc
	s_cbranch_execz .LBB9_18
; %bb.11:
	s_lshl_b64 s[6:7], s[14:15], 4
	s_add_u32 s14, s4, s6
	s_addc_u32 s15, s5, s7
	v_mov_b64_e32 v[2:3], s[14:15]
	flat_load_dwordx2 v[6:7], v[2:3] offset:8
	s_load_dwordx4 s[4:7], s[0:1], 0x58
	v_mov_b32_e32 v4, 0
	ds_read_b64 v[12:13], v4
	s_mov_b64 s[20:21], 0
	s_waitcnt lgkmcnt(0)
	s_mul_i32 s1, s6, s17
	s_mul_hi_u32 s17, s6, s16
	s_mul_i32 s7, s7, s16
	s_add_i32 s1, s17, s1
	s_mul_i32 s0, s6, s16
	s_add_i32 s1, s1, s7
	s_lshl_b64 s[0:1], s[0:1], 4
	s_add_u32 s16, s4, s0
	s_addc_u32 s17, s5, s1
	v_max_f64 v[2:3], v[12:13], v[12:13]
	s_cmp_eq_u64 s[10:11], 0
	s_cselect_b64 s[4:5], -1, 0
	s_cmp_lg_u64 s[10:11], 0
	s_cselect_b64 s[0:1], -1, 0
	s_mov_b64 s[6:7], 0
	s_waitcnt vmcnt(0)
	v_mul_f64 v[10:11], v[6:7], v[6:7]
	v_max_f64 v[2:3], v[2:3], v[10:11]
	v_cmp_nlt_f64_e32 vcc, 0, v[2:3]
                                        ; implicit-def: $vgpr2_vgpr3
	s_and_saveexec_b64 s[18:19], vcc
	s_xor_b64 s[18:19], exec, s[18:19]
	s_cbranch_execz .LBB9_14
; %bb.12:
	v_mov_b32_e32 v5, 0x3ff00000
	v_mov_b32_e32 v6, v4
	;; [unrolled: 1-line block ×3, first 2 shown]
	ds_write_b128 v4, v[4:7]
	v_mov_b32_e32 v5, v4
	s_and_b64 vcc, exec, s[0:1]
	global_store_dwordx4 v4, v[4:7], s[16:17]
	s_cbranch_vccz .LBB9_22
; %bb.13:
	v_mov_b64_e32 v[2:3], s[14:15]
	flat_load_dwordx2 v[2:3], v[2:3]
	s_mov_b64 s[6:7], -1
	s_and_b64 s[6:7], s[6:7], exec
                                        ; implicit-def: $vgpr10_vgpr11
                                        ; implicit-def: $vgpr12_vgpr13
                                        ; implicit-def: $vgpr6_vgpr7
	s_andn2_saveexec_b64 s[18:19], s[18:19]
	s_cbranch_execz .LBB9_23
	s_branch .LBB9_15
.LBB9_14:
	s_andn2_saveexec_b64 s[18:19], s[18:19]
	s_cbranch_execz .LBB9_23
.LBB9_15:
	s_waitcnt vmcnt(0) lgkmcnt(0)
	v_mov_b64_e32 v[2:3], s[14:15]
	flat_load_dwordx2 v[4:5], v[2:3]
	s_mov_b32 s22, 0
	s_brev_b32 s23, 8
	v_mov_b32_e32 v1, 0x100
	v_mov_b32_e32 v9, 0xffffff80
	;; [unrolled: 1-line block ×3, first 2 shown]
	s_and_b64 s[26:27], s[0:1], exec
	s_and_b64 s[20:21], s[4:5], exec
	v_mov_b32_e32 v44, 0
	s_waitcnt vmcnt(0) lgkmcnt(0)
	v_fma_f64 v[2:3], v[4:5], v[4:5], v[10:11]
	v_add_f64 v[2:3], v[12:13], v[2:3]
	v_cmp_gt_f64_e32 vcc, s[22:23], v[2:3]
	s_andn2_b64 s[22:23], s[6:7], exec
	s_nop 0
	v_cndmask_b32_e32 v1, 0, v1, vcc
	v_ldexp_f64 v[2:3], v[2:3], v1
	v_rsq_f64_e32 v[12:13], v[2:3]
	v_cndmask_b32_e32 v1, 0, v9, vcc
	v_cmp_class_f64_e32 vcc, v[2:3], v18
	v_mul_f64 v[14:15], v[2:3], v[12:13]
	v_mul_f64 v[12:13], v[12:13], 0.5
	v_fma_f64 v[16:17], -v[12:13], v[14:15], 0.5
	v_fmac_f64_e32 v[14:15], v[14:15], v[16:17]
	v_fmac_f64_e32 v[12:13], v[12:13], v[16:17]
	v_fma_f64 v[16:17], -v[14:15], v[14:15], v[2:3]
	v_fmac_f64_e32 v[14:15], v[16:17], v[12:13]
	v_fma_f64 v[16:17], -v[14:15], v[14:15], v[2:3]
	v_fmac_f64_e32 v[14:15], v[16:17], v[12:13]
	v_ldexp_f64 v[12:13], v[14:15], v1
	v_cndmask_b32_e32 v1, v13, v3, vcc
	v_cndmask_b32_e32 v2, v12, v2, vcc
	v_xor_b32_e32 v3, 0x80000000, v1
	v_cmp_le_f64_e32 vcc, 0, v[4:5]
	s_nop 1
	v_cndmask_b32_e32 v3, v1, v3, vcc
	v_add_f64 v[12:13], v[4:5], -v[2:3]
	v_add_f64 v[4:5], v[2:3], -v[4:5]
	v_div_scale_f64 v[14:15], s[0:1], v[2:3], v[2:3], -v[6:7]
	v_fmac_f64_e32 v[10:11], v[12:13], v[12:13]
	v_div_scale_f64 v[18:19], s[4:5], v[2:3], v[2:3], v[4:5]
	v_rcp_f64_e32 v[22:23], v[14:15]
	v_div_scale_f64 v[24:25], s[6:7], v[10:11], v[10:11], v[12:13]
	v_div_scale_f64 v[28:29], s[6:7], v[10:11], v[10:11], -v[6:7]
	v_rcp_f64_e32 v[32:33], v[18:19]
	v_rcp_f64_e32 v[34:35], v[24:25]
	;; [unrolled: 1-line block ×3, first 2 shown]
	v_fma_f64 v[38:39], -v[14:15], v[22:23], 1.0
	v_fma_f64 v[40:41], -v[18:19], v[32:33], 1.0
	v_fmac_f64_e32 v[22:23], v[22:23], v[38:39]
	v_fma_f64 v[38:39], -v[24:25], v[34:35], 1.0
	v_fma_f64 v[42:43], -v[28:29], v[36:37], 1.0
	v_fmac_f64_e32 v[32:33], v[32:33], v[40:41]
	v_fma_f64 v[40:41], -v[14:15], v[22:23], 1.0
	v_fmac_f64_e32 v[34:35], v[34:35], v[38:39]
	v_div_scale_f64 v[16:17], s[0:1], -v[6:7], v[2:3], -v[6:7]
	v_fmac_f64_e32 v[36:37], v[36:37], v[42:43]
	v_fma_f64 v[38:39], -v[18:19], v[32:33], 1.0
	v_fmac_f64_e32 v[22:23], v[22:23], v[40:41]
	v_fma_f64 v[40:41], -v[24:25], v[34:35], 1.0
	v_div_scale_f64 v[20:21], s[4:5], v[4:5], v[2:3], v[4:5]
	v_div_scale_f64 v[26:27], vcc, v[12:13], v[10:11], v[12:13]
	v_fma_f64 v[42:43], -v[28:29], v[36:37], 1.0
	v_fmac_f64_e32 v[32:33], v[32:33], v[38:39]
	v_mul_f64 v[38:39], v[16:17], v[22:23]
	v_fmac_f64_e32 v[34:35], v[34:35], v[40:41]
	v_div_scale_f64 v[30:31], s[6:7], -v[6:7], v[10:11], -v[6:7]
	v_fmac_f64_e32 v[36:37], v[36:37], v[42:43]
	v_mul_f64 v[40:41], v[20:21], v[32:33]
	v_fma_f64 v[16:17], -v[14:15], v[38:39], v[16:17]
	v_mul_f64 v[14:15], v[26:27], v[34:35]
	v_mul_f64 v[42:43], v[30:31], v[36:37]
	v_fma_f64 v[18:19], -v[18:19], v[40:41], v[20:21]
	v_fma_f64 v[20:21], -v[24:25], v[14:15], v[26:27]
	;; [unrolled: 1-line block ×3, first 2 shown]
	v_div_fmas_f64 v[14:15], v[20:21], v[34:35], v[14:15]
	s_mov_b64 vcc, s[6:7]
	v_div_fixup_f64 v[12:13], v[14:15], v[10:11], v[12:13]
	v_div_fmas_f64 v[14:15], v[24:25], v[36:37], v[42:43]
	s_mov_b64 vcc, s[4:5]
	v_div_fixup_f64 v[14:15], v[14:15], v[10:11], -v[6:7]
	v_div_fmas_f64 v[10:11], v[18:19], v[32:33], v[40:41]
	s_mov_b64 vcc, s[0:1]
	v_div_fixup_f64 v[4:5], v[10:11], v[2:3], v[4:5]
	v_div_fmas_f64 v[10:11], v[16:17], v[22:23], v[38:39]
	v_div_fixup_f64 v[6:7], v[10:11], v[2:3], -v[6:7]
	ds_write_b128 v44, v[12:15]
	global_store_dwordx4 v44, v[4:7], s[16:17]
	s_or_b64 s[6:7], s[22:23], s[26:27]
	s_or_b64 exec, exec, s[18:19]
	s_and_saveexec_b64 s[0:1], s[6:7]
	s_cbranch_execnz .LBB9_24
.LBB9_16:
	s_or_b64 exec, exec, s[0:1]
	s_and_b64 exec, exec, s[20:21]
	s_cbranch_execz .LBB9_18
.LBB9_17:
	v_mov_b32_e32 v4, 0
	v_mov_b32_e32 v5, v4
	v_mov_b64_e32 v[6:7], s[14:15]
	s_waitcnt vmcnt(0) lgkmcnt(0)
	flat_store_dwordx4 v[6:7], v[2:5]
.LBB9_18:
	s_or_b64 exec, exec, s[12:13]
	s_waitcnt lgkmcnt(0)
	s_barrier
	s_and_saveexec_b64 s[0:1], s[2:3]
	s_cbranch_execz .LBB9_21
; %bb.19:
	v_mov_b32_e32 v1, 0
	s_waitcnt vmcnt(0)
	ds_read_b128 v[2:5], v1
	s_lshl_b32 s2, s25, 10
	s_mov_b64 s[0:1], 0
.LBB9_20:                               ; =>This Inner Loop Header: Depth=1
	v_ashrrev_i32_e32 v9, 31, v8
	v_lshl_add_u64 v[6:7], v[8:9], 4, s[8:9]
	flat_load_dwordx4 v[10:13], v[6:7]
	v_add_u32_e32 v0, 0x400, v0
	v_cmp_le_i32_e32 vcc, s24, v0
	s_or_b64 s[0:1], vcc, s[0:1]
	v_add_u32_e32 v8, s2, v8
	s_waitcnt vmcnt(0) lgkmcnt(0)
	v_mul_f64 v[16:17], v[4:5], v[12:13]
	v_mul_f64 v[14:15], v[2:3], v[12:13]
	v_fma_f64 v[12:13], v[2:3], v[10:11], -v[16:17]
	v_fmac_f64_e32 v[14:15], v[4:5], v[10:11]
	flat_store_dwordx4 v[6:7], v[12:15]
	s_andn2_b64 exec, exec, s[0:1]
	s_cbranch_execnz .LBB9_20
.LBB9_21:
	s_endpgm
.LBB9_22:
                                        ; implicit-def: $vgpr2_vgpr3
	s_and_b64 s[6:7], s[6:7], exec
                                        ; implicit-def: $vgpr10_vgpr11
                                        ; implicit-def: $vgpr12_vgpr13
                                        ; implicit-def: $vgpr6_vgpr7
	s_andn2_saveexec_b64 s[18:19], s[18:19]
	s_cbranch_execnz .LBB9_15
.LBB9_23:
	s_or_b64 exec, exec, s[18:19]
	s_and_saveexec_b64 s[0:1], s[6:7]
	s_cbranch_execz .LBB9_16
.LBB9_24:
	v_mov_b32_e32 v1, 0
	s_waitcnt vmcnt(0) lgkmcnt(0)
	global_store_dwordx2 v1, v[2:3], s[10:11]
	v_mov_b64_e32 v[2:3], 1.0
	s_or_b64 s[20:21], s[20:21], exec
	s_or_b64 exec, exec, s[0:1]
	s_and_b64 exec, exec, s[20:21]
	s_cbranch_execnz .LBB9_17
	s_branch .LBB9_18
	.section	.rodata,"a",@progbits
	.p2align	6, 0x0
	.amdhsa_kernel _ZN9rocsolver6v33100L18larfg_kernel_smallILi1024E19rocblas_complex_numIdEidPKPS3_EEvT1_T3_llPT2_llS8_lS7_lPT0_l
		.amdhsa_group_segment_fixed_size 256
		.amdhsa_private_segment_fixed_size 0
		.amdhsa_kernarg_size 104
		.amdhsa_user_sgpr_count 2
		.amdhsa_user_sgpr_dispatch_ptr 0
		.amdhsa_user_sgpr_queue_ptr 0
		.amdhsa_user_sgpr_kernarg_segment_ptr 1
		.amdhsa_user_sgpr_dispatch_id 0
		.amdhsa_user_sgpr_kernarg_preload_length 0
		.amdhsa_user_sgpr_kernarg_preload_offset 0
		.amdhsa_user_sgpr_private_segment_size 0
		.amdhsa_uses_dynamic_stack 0
		.amdhsa_enable_private_segment 0
		.amdhsa_system_sgpr_workgroup_id_x 1
		.amdhsa_system_sgpr_workgroup_id_y 0
		.amdhsa_system_sgpr_workgroup_id_z 1
		.amdhsa_system_sgpr_workgroup_info 0
		.amdhsa_system_vgpr_workitem_id 0
		.amdhsa_next_free_vgpr 45
		.amdhsa_next_free_sgpr 28
		.amdhsa_accum_offset 48
		.amdhsa_reserve_vcc 1
		.amdhsa_float_round_mode_32 0
		.amdhsa_float_round_mode_16_64 0
		.amdhsa_float_denorm_mode_32 3
		.amdhsa_float_denorm_mode_16_64 3
		.amdhsa_dx10_clamp 1
		.amdhsa_ieee_mode 1
		.amdhsa_fp16_overflow 0
		.amdhsa_tg_split 0
		.amdhsa_exception_fp_ieee_invalid_op 0
		.amdhsa_exception_fp_denorm_src 0
		.amdhsa_exception_fp_ieee_div_zero 0
		.amdhsa_exception_fp_ieee_overflow 0
		.amdhsa_exception_fp_ieee_underflow 0
		.amdhsa_exception_fp_ieee_inexact 0
		.amdhsa_exception_int_div_zero 0
	.end_amdhsa_kernel
	.section	.text._ZN9rocsolver6v33100L18larfg_kernel_smallILi1024E19rocblas_complex_numIdEidPKPS3_EEvT1_T3_llPT2_llS8_lS7_lPT0_l,"axG",@progbits,_ZN9rocsolver6v33100L18larfg_kernel_smallILi1024E19rocblas_complex_numIdEidPKPS3_EEvT1_T3_llPT2_llS8_lS7_lPT0_l,comdat
.Lfunc_end9:
	.size	_ZN9rocsolver6v33100L18larfg_kernel_smallILi1024E19rocblas_complex_numIdEidPKPS3_EEvT1_T3_llPT2_llS8_lS7_lPT0_l, .Lfunc_end9-_ZN9rocsolver6v33100L18larfg_kernel_smallILi1024E19rocblas_complex_numIdEidPKPS3_EEvT1_T3_llPT2_llS8_lS7_lPT0_l
                                        ; -- End function
	.set _ZN9rocsolver6v33100L18larfg_kernel_smallILi1024E19rocblas_complex_numIdEidPKPS3_EEvT1_T3_llPT2_llS8_lS7_lPT0_l.num_vgpr, 45
	.set _ZN9rocsolver6v33100L18larfg_kernel_smallILi1024E19rocblas_complex_numIdEidPKPS3_EEvT1_T3_llPT2_llS8_lS7_lPT0_l.num_agpr, 0
	.set _ZN9rocsolver6v33100L18larfg_kernel_smallILi1024E19rocblas_complex_numIdEidPKPS3_EEvT1_T3_llPT2_llS8_lS7_lPT0_l.numbered_sgpr, 28
	.set _ZN9rocsolver6v33100L18larfg_kernel_smallILi1024E19rocblas_complex_numIdEidPKPS3_EEvT1_T3_llPT2_llS8_lS7_lPT0_l.num_named_barrier, 0
	.set _ZN9rocsolver6v33100L18larfg_kernel_smallILi1024E19rocblas_complex_numIdEidPKPS3_EEvT1_T3_llPT2_llS8_lS7_lPT0_l.private_seg_size, 0
	.set _ZN9rocsolver6v33100L18larfg_kernel_smallILi1024E19rocblas_complex_numIdEidPKPS3_EEvT1_T3_llPT2_llS8_lS7_lPT0_l.uses_vcc, 1
	.set _ZN9rocsolver6v33100L18larfg_kernel_smallILi1024E19rocblas_complex_numIdEidPKPS3_EEvT1_T3_llPT2_llS8_lS7_lPT0_l.uses_flat_scratch, 0
	.set _ZN9rocsolver6v33100L18larfg_kernel_smallILi1024E19rocblas_complex_numIdEidPKPS3_EEvT1_T3_llPT2_llS8_lS7_lPT0_l.has_dyn_sized_stack, 0
	.set _ZN9rocsolver6v33100L18larfg_kernel_smallILi1024E19rocblas_complex_numIdEidPKPS3_EEvT1_T3_llPT2_llS8_lS7_lPT0_l.has_recursion, 0
	.set _ZN9rocsolver6v33100L18larfg_kernel_smallILi1024E19rocblas_complex_numIdEidPKPS3_EEvT1_T3_llPT2_llS8_lS7_lPT0_l.has_indirect_call, 0
	.section	.AMDGPU.csdata,"",@progbits
; Kernel info:
; codeLenInByte = 2348
; TotalNumSgprs: 34
; NumVgprs: 45
; NumAgprs: 0
; TotalNumVgprs: 45
; ScratchSize: 0
; MemoryBound: 0
; FloatMode: 240
; IeeeMode: 1
; LDSByteSize: 256 bytes/workgroup (compile time only)
; SGPRBlocks: 4
; VGPRBlocks: 5
; NumSGPRsForWavesPerEU: 34
; NumVGPRsForWavesPerEU: 45
; AccumOffset: 48
; Occupancy: 8
; WaveLimiterHint : 1
; COMPUTE_PGM_RSRC2:SCRATCH_EN: 0
; COMPUTE_PGM_RSRC2:USER_SGPR: 2
; COMPUTE_PGM_RSRC2:TRAP_HANDLER: 0
; COMPUTE_PGM_RSRC2:TGID_X_EN: 1
; COMPUTE_PGM_RSRC2:TGID_Y_EN: 0
; COMPUTE_PGM_RSRC2:TGID_Z_EN: 1
; COMPUTE_PGM_RSRC2:TIDIG_COMP_CNT: 0
; COMPUTE_PGM_RSRC3_GFX90A:ACCUM_OFFSET: 11
; COMPUTE_PGM_RSRC3_GFX90A:TG_SPLIT: 0
	.section	.text._ZN9rocsolver6v33100L18larfg_kernel_smallILi64E19rocblas_complex_numIdEldPS3_EEvT1_T3_llPT2_llS6_lS5_lPT0_l,"axG",@progbits,_ZN9rocsolver6v33100L18larfg_kernel_smallILi64E19rocblas_complex_numIdEldPS3_EEvT1_T3_llPT2_llS6_lS5_lPT0_l,comdat
	.globl	_ZN9rocsolver6v33100L18larfg_kernel_smallILi64E19rocblas_complex_numIdEldPS3_EEvT1_T3_llPT2_llS6_lS5_lPT0_l ; -- Begin function _ZN9rocsolver6v33100L18larfg_kernel_smallILi64E19rocblas_complex_numIdEldPS3_EEvT1_T3_llPT2_llS6_lS5_lPT0_l
	.p2align	8
	.type	_ZN9rocsolver6v33100L18larfg_kernel_smallILi64E19rocblas_complex_numIdEldPS3_EEvT1_T3_llPT2_llS6_lS5_lPT0_l,@function
_ZN9rocsolver6v33100L18larfg_kernel_smallILi64E19rocblas_complex_numIdEldPS3_EEvT1_T3_llPT2_llS6_lS5_lPT0_l: ; @_ZN9rocsolver6v33100L18larfg_kernel_smallILi64E19rocblas_complex_numIdEldPS3_EEvT1_T3_llPT2_llS6_lS5_lPT0_l
; %bb.0:
	s_load_dwordx16 s[4:19], s[0:1], 0x0
	s_mov_b64 s[28:29], 0
	s_waitcnt lgkmcnt(0)
	s_cmp_eq_u64 s[12:13], 0
	s_cbranch_scc1 .LBB10_2
; %bb.1:
	s_mul_i32 s2, s17, s3
	s_mul_hi_u32 s17, s16, s3
	s_add_i32 s17, s17, s2
	s_mul_i32 s16, s16, s3
	s_lshl_b64 s[16:17], s[16:17], 3
	s_add_u32 s2, s12, s16
	s_addc_u32 s16, s13, s17
	s_lshl_b64 s[12:13], s[14:15], 3
	s_add_u32 s28, s2, s12
	s_addc_u32 s29, s16, s13
.LBB10_2:
	s_load_dwordx8 s[20:27], s[0:1], 0x40
	s_load_dwordx2 s[30:31], s[0:1], 0x60
	s_add_u32 s12, s4, -1
	v_mov_b32_e32 v1, 0
	s_addc_u32 s13, s5, -1
	v_cmp_gt_i64_e64 s[0:1], s[12:13], v[0:1]
	v_mov_b64_e32 v[2:3], 0
	s_waitcnt lgkmcnt(0)
	s_mul_i32 s33, s25, s3
	s_mul_hi_u32 s34, s24, s3
	s_mul_i32 s14, s24, s3
	v_mov_b64_e32 v[4:5], 0
	s_and_saveexec_b64 s[4:5], s[0:1]
	s_cbranch_execz .LBB10_6
; %bb.3:
	v_mad_u64_u32 v[2:3], s[24:25], s22, v0, 0
	v_mov_b32_e32 v4, v3
	s_add_i32 s15, s34, s33
	v_mad_u64_u32 v[4:5], s[24:25], s23, v0, v[4:5]
	s_lshl_b64 s[16:17], s[14:15], 4
	s_lshl_b64 s[24:25], s[20:21], 4
	s_add_u32 s2, s18, s24
	s_addc_u32 s15, s19, s25
	s_add_u32 s16, s2, s16
	v_mov_b32_e32 v3, v4
	s_addc_u32 s17, s15, s17
	v_lshl_add_u64 v[6:7], v[2:3], 4, s[16:17]
	s_lshl_b64 s[16:17], s[22:23], 10
	v_mov_b64_e32 v[2:3], 0
	s_mov_b64 s[24:25], 0
	v_mov_b64_e32 v[8:9], v[0:1]
	v_mov_b64_e32 v[4:5], 0
.LBB10_4:                               ; =>This Inner Loop Header: Depth=1
	global_load_dwordx4 v[10:13], v[6:7], off
	v_lshl_add_u64 v[8:9], v[8:9], 0, 64
	v_cmp_le_i64_e32 vcc, s[12:13], v[8:9]
	v_lshl_add_u64 v[6:7], v[6:7], 0, s[16:17]
	s_or_b64 s[24:25], vcc, s[24:25]
	s_waitcnt vmcnt(0)
	v_mul_f64 v[14:15], v[12:13], v[12:13]
	v_mul_f64 v[16:17], v[10:11], v[12:13]
	v_fmac_f64_e32 v[14:15], v[10:11], v[10:11]
	v_fma_f64 v[10:11], v[10:11], v[12:13], -v[16:17]
	v_add_f64 v[4:5], v[4:5], v[14:15]
	v_add_f64 v[2:3], v[2:3], v[10:11]
	s_andn2_b64 exec, exec, s[24:25]
	s_cbranch_execnz .LBB10_4
; %bb.5:
	s_or_b64 exec, exec, s[24:25]
.LBB10_6:
	s_or_b64 exec, exec, s[4:5]
	v_mbcnt_lo_u32_b32 v6, -1, 0
	v_mbcnt_hi_u32_b32 v10, -1, v6
	v_and_b32_e32 v11, 63, v10
	v_cmp_ne_u32_e32 vcc, 63, v11
	s_nop 1
	v_addc_co_u32_e32 v6, vcc, 0, v10, vcc
	v_lshlrev_b32_e32 v9, 2, v6
	ds_bpermute_b32 v6, v9, v4
	ds_bpermute_b32 v7, v9, v5
	ds_bpermute_b32 v8, v9, v2
	ds_bpermute_b32 v9, v9, v3
	v_cmp_gt_u32_e32 vcc, 62, v11
	s_waitcnt lgkmcnt(2)
	v_add_f64 v[4:5], v[4:5], v[6:7]
	v_cndmask_b32_e64 v6, 0, 2, vcc
	s_waitcnt lgkmcnt(0)
	v_add_f64 v[2:3], v[2:3], v[8:9]
	v_add_lshl_u32 v9, v6, v10, 2
	ds_bpermute_b32 v6, v9, v4
	ds_bpermute_b32 v7, v9, v5
	ds_bpermute_b32 v8, v9, v2
	ds_bpermute_b32 v9, v9, v3
	v_cmp_gt_u32_e32 vcc, 60, v11
	s_waitcnt lgkmcnt(2)
	v_add_f64 v[4:5], v[4:5], v[6:7]
	v_cndmask_b32_e64 v6, 0, 4, vcc
	s_waitcnt lgkmcnt(0)
	v_add_f64 v[2:3], v[2:3], v[8:9]
	v_add_lshl_u32 v9, v6, v10, 2
	;; [unrolled: 11-line block ×4, first 2 shown]
	ds_bpermute_b32 v6, v9, v4
	ds_bpermute_b32 v7, v9, v5
	;; [unrolled: 1-line block ×4, first 2 shown]
	v_cmp_eq_u32_e32 vcc, 0, v0
	s_waitcnt lgkmcnt(2)
	v_add_f64 v[4:5], v[4:5], v[6:7]
	s_waitcnt lgkmcnt(0)
	v_add_f64 v[6:7], v[2:3], v[8:9]
	v_mov_b32_e32 v2, 0x80
	v_lshl_or_b32 v9, v10, 2, v2
	ds_bpermute_b32 v2, v9, v4
	ds_bpermute_b32 v3, v9, v5
	ds_bpermute_b32 v8, v9, v6
	ds_bpermute_b32 v9, v9, v7
	s_waitcnt lgkmcnt(2)
	v_add_f64 v[2:3], v[4:5], v[2:3]
	s_waitcnt lgkmcnt(0)
	v_add_f64 v[4:5], v[6:7], v[8:9]
	s_and_saveexec_b64 s[4:5], vcc
; %bb.7:
	v_lshrrev_b32_e32 v6, 2, v0
	ds_write_b128 v6, v[2:5]
; %bb.8:
	s_or_b64 exec, exec, s[4:5]
	v_cmp_eq_u32_e32 vcc, 0, v0
	s_waitcnt lgkmcnt(0)
	; wave barrier
	s_and_saveexec_b64 s[4:5], vcc
; %bb.9:
	v_mov_b32_e32 v6, 0
	ds_write_b128 v6, v[2:5]
; %bb.10:
	s_or_b64 exec, exec, s[4:5]
	s_waitcnt lgkmcnt(0)
	; wave barrier
	s_and_saveexec_b64 s[16:17], vcc
	s_cbranch_execz .LBB10_20
; %bb.11:
	s_mul_i32 s2, s11, s3
	s_mul_hi_u32 s4, s10, s3
	s_add_i32 s5, s4, s2
	s_mul_i32 s4, s10, s3
	s_lshl_b64 s[4:5], s[4:5], 4
	s_add_u32 s2, s6, s4
	s_addc_u32 s6, s7, s5
	s_lshl_b64 s[4:5], s[8:9], 4
	s_add_u32 s8, s2, s4
	s_addc_u32 s9, s6, s5
	v_mov_b32_e32 v2, 0
	s_load_dwordx2 s[10:11], s[8:9], 0x8
	ds_read_b64 v[8:9], v2
	s_mul_i32 s2, s31, s3
	s_mul_hi_u32 s4, s30, s3
	s_add_i32 s5, s4, s2
	s_mul_i32 s4, s30, s3
	s_lshl_b64 s[2:3], s[4:5], 4
	s_add_u32 s24, s26, s2
	s_addc_u32 s25, s27, s3
	s_waitcnt lgkmcnt(0)
	v_mul_f64 v[6:7], s[10:11], s[10:11]
	v_max_f64 v[4:5], v[8:9], v[8:9]
	s_cmp_eq_u64 s[28:29], 0
	v_max_f64 v[4:5], v[4:5], v[6:7]
	s_cselect_b64 s[2:3], -1, 0
	s_cmp_lg_u64 s[28:29], 0
	v_cmp_nlt_f64_e32 vcc, 0, v[4:5]
	s_mov_b64 s[30:31], 0
	s_cselect_b64 s[26:27], -1, 0
	s_cbranch_vccz .LBB10_14
; %bb.12:
	v_mov_b32_e32 v3, 0x3ff00000
	v_mov_b32_e32 v4, v2
	;; [unrolled: 1-line block ×3, first 2 shown]
	ds_write_b128 v2, v[2:5]
	v_mov_b32_e32 v3, v2
	s_mov_b64 s[6:7], 0
	s_and_b64 vcc, exec, s[26:27]
	global_store_dwordx4 v2, v[2:5], s[24:25]
                                        ; implicit-def: $vgpr4_vgpr5
	s_cbranch_vccz .LBB10_15
; %bb.13:
	s_nop 0
	v_mov_b32_e32 v2, 0
	global_load_dwordx2 v[2:3], v2, s[8:9]
	s_mov_b64 s[4:5], -1
	s_and_b64 vcc, exec, s[6:7]
	s_cbranch_vccnz .LBB10_16
	s_branch .LBB10_17
.LBB10_14:
	s_mov_b64 s[6:7], -1
.LBB10_15:
	s_mov_b64 s[4:5], 0
                                        ; implicit-def: $vgpr2_vgpr3
	s_and_b64 vcc, exec, s[6:7]
	s_cbranch_vccz .LBB10_17
.LBB10_16:
	v_mov_b32_e32 v40, 0
	global_load_dwordx2 v[4:5], v40, s[8:9]
	s_mov_b32 s4, 0
	s_brev_b32 s5, 8
	v_mov_b32_e32 v14, 0x260
	s_mov_b64 s[30:31], s[2:3]
	s_waitcnt vmcnt(0)
	v_fma_f64 v[2:3], v[4:5], v[4:5], v[6:7]
	v_add_f64 v[2:3], v[8:9], v[2:3]
	v_cmp_gt_f64_e32 vcc, s[4:5], v[2:3]
	s_and_b64 s[4:5], vcc, exec
	s_cselect_b32 s4, 0x100, 0
	v_ldexp_f64 v[2:3], v[2:3], s4
	v_rsq_f64_e32 v[8:9], v[2:3]
	s_cselect_b32 s2, 0xffffff80, 0
	v_cmp_class_f64_e32 vcc, v[2:3], v14
	v_mul_f64 v[10:11], v[2:3], v[8:9]
	v_mul_f64 v[8:9], v[8:9], 0.5
	v_fma_f64 v[12:13], -v[8:9], v[10:11], 0.5
	v_fmac_f64_e32 v[10:11], v[10:11], v[12:13]
	v_fmac_f64_e32 v[8:9], v[8:9], v[12:13]
	v_fma_f64 v[12:13], -v[10:11], v[10:11], v[2:3]
	v_fmac_f64_e32 v[10:11], v[12:13], v[8:9]
	v_fma_f64 v[12:13], -v[10:11], v[10:11], v[2:3]
	v_fmac_f64_e32 v[10:11], v[12:13], v[8:9]
	v_ldexp_f64 v[8:9], v[10:11], s2
	v_cndmask_b32_e32 v3, v9, v3, vcc
	v_cndmask_b32_e32 v2, v8, v2, vcc
	v_xor_b32_e32 v8, 0x80000000, v3
	v_cmp_le_f64_e32 vcc, 0, v[4:5]
	s_nop 1
	v_cndmask_b32_e32 v3, v3, v8, vcc
	v_add_f64 v[8:9], v[4:5], -v[2:3]
	v_add_f64 v[10:11], v[2:3], -v[4:5]
	v_div_scale_f64 v[4:5], s[2:3], v[2:3], v[2:3], -s[10:11]
	v_fmac_f64_e32 v[6:7], v[8:9], v[8:9]
	v_div_scale_f64 v[14:15], s[4:5], v[2:3], v[2:3], v[10:11]
	v_rcp_f64_e32 v[18:19], v[4:5]
	v_div_scale_f64 v[20:21], s[6:7], v[6:7], v[6:7], v[8:9]
	v_div_scale_f64 v[24:25], s[6:7], v[6:7], v[6:7], -s[10:11]
	v_rcp_f64_e32 v[28:29], v[14:15]
	v_rcp_f64_e32 v[30:31], v[20:21]
	;; [unrolled: 1-line block ×3, first 2 shown]
	v_fma_f64 v[34:35], -v[4:5], v[18:19], 1.0
	v_fma_f64 v[36:37], -v[14:15], v[28:29], 1.0
	v_fmac_f64_e32 v[18:19], v[18:19], v[34:35]
	v_fma_f64 v[34:35], -v[20:21], v[30:31], 1.0
	v_fma_f64 v[38:39], -v[24:25], v[32:33], 1.0
	v_fmac_f64_e32 v[28:29], v[28:29], v[36:37]
	v_fma_f64 v[36:37], -v[4:5], v[18:19], 1.0
	v_fmac_f64_e32 v[30:31], v[30:31], v[34:35]
	v_div_scale_f64 v[12:13], s[2:3], -s[10:11], v[2:3], -s[10:11]
	v_fmac_f64_e32 v[32:33], v[32:33], v[38:39]
	v_fma_f64 v[34:35], -v[14:15], v[28:29], 1.0
	v_fmac_f64_e32 v[18:19], v[18:19], v[36:37]
	v_fma_f64 v[36:37], -v[20:21], v[30:31], 1.0
	v_div_scale_f64 v[16:17], s[4:5], v[10:11], v[2:3], v[10:11]
	v_div_scale_f64 v[22:23], vcc, v[8:9], v[6:7], v[8:9]
	v_fma_f64 v[38:39], -v[24:25], v[32:33], 1.0
	v_fmac_f64_e32 v[28:29], v[28:29], v[34:35]
	v_mul_f64 v[34:35], v[12:13], v[18:19]
	v_fmac_f64_e32 v[30:31], v[30:31], v[36:37]
	v_div_scale_f64 v[26:27], s[6:7], -s[10:11], v[6:7], -s[10:11]
	v_fmac_f64_e32 v[32:33], v[32:33], v[38:39]
	v_mul_f64 v[36:37], v[16:17], v[28:29]
	v_fma_f64 v[12:13], -v[4:5], v[34:35], v[12:13]
	v_mul_f64 v[4:5], v[22:23], v[30:31]
	v_mul_f64 v[38:39], v[26:27], v[32:33]
	v_fma_f64 v[14:15], -v[14:15], v[36:37], v[16:17]
	v_fma_f64 v[16:17], -v[20:21], v[4:5], v[22:23]
	;; [unrolled: 1-line block ×3, first 2 shown]
	v_div_fmas_f64 v[4:5], v[16:17], v[30:31], v[4:5]
	s_mov_b64 vcc, s[6:7]
	v_div_fixup_f64 v[4:5], v[4:5], v[6:7], v[8:9]
	v_div_fmas_f64 v[8:9], v[20:21], v[32:33], v[38:39]
	s_mov_b64 vcc, s[4:5]
	v_div_fixup_f64 v[6:7], v[8:9], v[6:7], -s[10:11]
	v_div_fmas_f64 v[8:9], v[14:15], v[28:29], v[36:37]
	s_mov_b64 vcc, s[2:3]
	ds_write_b128 v40, v[4:7]
	v_div_fmas_f64 v[6:7], v[12:13], v[18:19], v[34:35]
	v_div_fixup_f64 v[4:5], v[8:9], v[2:3], v[10:11]
	v_div_fixup_f64 v[6:7], v[6:7], v[2:3], -s[10:11]
	s_mov_b64 s[4:5], s[26:27]
	global_store_dwordx4 v40, v[4:7], s[24:25]
.LBB10_17:
	s_andn2_b64 vcc, exec, s[4:5]
	s_cbranch_vccz .LBB10_24
; %bb.18:
	s_andn2_b64 vcc, exec, s[30:31]
	s_cbranch_vccnz .LBB10_20
.LBB10_19:
	v_mov_b32_e32 v4, 0
	v_mov_b32_e32 v5, v4
	s_waitcnt vmcnt(0)
	global_store_dwordx4 v4, v[2:5], s[8:9]
.LBB10_20:
	s_or_b64 exec, exec, s[16:17]
	s_waitcnt lgkmcnt(0)
	; wave barrier
	s_and_saveexec_b64 s[2:3], s[0:1]
	s_cbranch_execz .LBB10_23
; %bb.21:
	v_mad_u64_u32 v[6:7], s[2:3], s22, v0, 0
	v_mov_b32_e32 v8, v7
	s_add_i32 s15, s34, s33
	v_mad_u64_u32 v[8:9], s[2:3], s23, v0, v[8:9]
	s_lshl_b64 s[0:1], s[14:15], 4
	s_lshl_b64 s[2:3], s[20:21], 4
	s_waitcnt vmcnt(0)
	v_mov_b32_e32 v2, 0
	s_add_u32 s2, s18, s2
	ds_read_b128 v[2:5], v2
	s_addc_u32 s3, s19, s3
	s_add_u32 s0, s2, s0
	v_mov_b32_e32 v7, v8
	s_addc_u32 s1, s3, s1
	v_lshl_add_u64 v[6:7], v[6:7], 4, s[0:1]
	v_lshl_add_u64 v[6:7], v[6:7], 0, 8
	s_lshl_b64 s[0:1], s[22:23], 10
	s_mov_b64 s[2:3], 0
.LBB10_22:                              ; =>This Inner Loop Header: Depth=1
	global_load_dwordx4 v[8:11], v[6:7], off offset:-8
	v_lshl_add_u64 v[0:1], v[0:1], 0, 64
	v_cmp_le_i64_e32 vcc, s[12:13], v[0:1]
	s_or_b64 s[2:3], vcc, s[2:3]
	s_waitcnt vmcnt(0) lgkmcnt(0)
	v_mul_f64 v[14:15], v[4:5], v[10:11]
	v_mul_f64 v[12:13], v[2:3], v[10:11]
	v_fma_f64 v[10:11], v[2:3], v[8:9], -v[14:15]
	v_fmac_f64_e32 v[12:13], v[4:5], v[8:9]
	global_store_dwordx4 v[6:7], v[10:13], off offset:-8
	v_lshl_add_u64 v[6:7], v[6:7], 0, s[0:1]
	s_andn2_b64 exec, exec, s[2:3]
	s_cbranch_execnz .LBB10_22
.LBB10_23:
	s_endpgm
.LBB10_24:
	v_mov_b32_e32 v4, 0
	s_waitcnt vmcnt(0)
	global_store_dwordx2 v4, v[2:3], s[28:29]
	v_mov_b64_e32 v[2:3], 1.0
	s_branch .LBB10_19
	.section	.rodata,"a",@progbits
	.p2align	6, 0x0
	.amdhsa_kernel _ZN9rocsolver6v33100L18larfg_kernel_smallILi64E19rocblas_complex_numIdEldPS3_EEvT1_T3_llPT2_llS6_lS5_lPT0_l
		.amdhsa_group_segment_fixed_size 16
		.amdhsa_private_segment_fixed_size 0
		.amdhsa_kernarg_size 104
		.amdhsa_user_sgpr_count 2
		.amdhsa_user_sgpr_dispatch_ptr 0
		.amdhsa_user_sgpr_queue_ptr 0
		.amdhsa_user_sgpr_kernarg_segment_ptr 1
		.amdhsa_user_sgpr_dispatch_id 0
		.amdhsa_user_sgpr_kernarg_preload_length 0
		.amdhsa_user_sgpr_kernarg_preload_offset 0
		.amdhsa_user_sgpr_private_segment_size 0
		.amdhsa_uses_dynamic_stack 0
		.amdhsa_enable_private_segment 0
		.amdhsa_system_sgpr_workgroup_id_x 1
		.amdhsa_system_sgpr_workgroup_id_y 0
		.amdhsa_system_sgpr_workgroup_id_z 1
		.amdhsa_system_sgpr_workgroup_info 0
		.amdhsa_system_vgpr_workitem_id 0
		.amdhsa_next_free_vgpr 41
		.amdhsa_next_free_sgpr 35
		.amdhsa_accum_offset 44
		.amdhsa_reserve_vcc 1
		.amdhsa_float_round_mode_32 0
		.amdhsa_float_round_mode_16_64 0
		.amdhsa_float_denorm_mode_32 3
		.amdhsa_float_denorm_mode_16_64 3
		.amdhsa_dx10_clamp 1
		.amdhsa_ieee_mode 1
		.amdhsa_fp16_overflow 0
		.amdhsa_tg_split 0
		.amdhsa_exception_fp_ieee_invalid_op 0
		.amdhsa_exception_fp_denorm_src 0
		.amdhsa_exception_fp_ieee_div_zero 0
		.amdhsa_exception_fp_ieee_overflow 0
		.amdhsa_exception_fp_ieee_underflow 0
		.amdhsa_exception_fp_ieee_inexact 0
		.amdhsa_exception_int_div_zero 0
	.end_amdhsa_kernel
	.section	.text._ZN9rocsolver6v33100L18larfg_kernel_smallILi64E19rocblas_complex_numIdEldPS3_EEvT1_T3_llPT2_llS6_lS5_lPT0_l,"axG",@progbits,_ZN9rocsolver6v33100L18larfg_kernel_smallILi64E19rocblas_complex_numIdEldPS3_EEvT1_T3_llPT2_llS6_lS5_lPT0_l,comdat
.Lfunc_end10:
	.size	_ZN9rocsolver6v33100L18larfg_kernel_smallILi64E19rocblas_complex_numIdEldPS3_EEvT1_T3_llPT2_llS6_lS5_lPT0_l, .Lfunc_end10-_ZN9rocsolver6v33100L18larfg_kernel_smallILi64E19rocblas_complex_numIdEldPS3_EEvT1_T3_llPT2_llS6_lS5_lPT0_l
                                        ; -- End function
	.set _ZN9rocsolver6v33100L18larfg_kernel_smallILi64E19rocblas_complex_numIdEldPS3_EEvT1_T3_llPT2_llS6_lS5_lPT0_l.num_vgpr, 41
	.set _ZN9rocsolver6v33100L18larfg_kernel_smallILi64E19rocblas_complex_numIdEldPS3_EEvT1_T3_llPT2_llS6_lS5_lPT0_l.num_agpr, 0
	.set _ZN9rocsolver6v33100L18larfg_kernel_smallILi64E19rocblas_complex_numIdEldPS3_EEvT1_T3_llPT2_llS6_lS5_lPT0_l.numbered_sgpr, 35
	.set _ZN9rocsolver6v33100L18larfg_kernel_smallILi64E19rocblas_complex_numIdEldPS3_EEvT1_T3_llPT2_llS6_lS5_lPT0_l.num_named_barrier, 0
	.set _ZN9rocsolver6v33100L18larfg_kernel_smallILi64E19rocblas_complex_numIdEldPS3_EEvT1_T3_llPT2_llS6_lS5_lPT0_l.private_seg_size, 0
	.set _ZN9rocsolver6v33100L18larfg_kernel_smallILi64E19rocblas_complex_numIdEldPS3_EEvT1_T3_llPT2_llS6_lS5_lPT0_l.uses_vcc, 1
	.set _ZN9rocsolver6v33100L18larfg_kernel_smallILi64E19rocblas_complex_numIdEldPS3_EEvT1_T3_llPT2_llS6_lS5_lPT0_l.uses_flat_scratch, 0
	.set _ZN9rocsolver6v33100L18larfg_kernel_smallILi64E19rocblas_complex_numIdEldPS3_EEvT1_T3_llPT2_llS6_lS5_lPT0_l.has_dyn_sized_stack, 0
	.set _ZN9rocsolver6v33100L18larfg_kernel_smallILi64E19rocblas_complex_numIdEldPS3_EEvT1_T3_llPT2_llS6_lS5_lPT0_l.has_recursion, 0
	.set _ZN9rocsolver6v33100L18larfg_kernel_smallILi64E19rocblas_complex_numIdEldPS3_EEvT1_T3_llPT2_llS6_lS5_lPT0_l.has_indirect_call, 0
	.section	.AMDGPU.csdata,"",@progbits
; Kernel info:
; codeLenInByte = 1872
; TotalNumSgprs: 41
; NumVgprs: 41
; NumAgprs: 0
; TotalNumVgprs: 41
; ScratchSize: 0
; MemoryBound: 0
; FloatMode: 240
; IeeeMode: 1
; LDSByteSize: 16 bytes/workgroup (compile time only)
; SGPRBlocks: 5
; VGPRBlocks: 5
; NumSGPRsForWavesPerEU: 41
; NumVGPRsForWavesPerEU: 41
; AccumOffset: 44
; Occupancy: 8
; WaveLimiterHint : 0
; COMPUTE_PGM_RSRC2:SCRATCH_EN: 0
; COMPUTE_PGM_RSRC2:USER_SGPR: 2
; COMPUTE_PGM_RSRC2:TRAP_HANDLER: 0
; COMPUTE_PGM_RSRC2:TGID_X_EN: 1
; COMPUTE_PGM_RSRC2:TGID_Y_EN: 0
; COMPUTE_PGM_RSRC2:TGID_Z_EN: 1
; COMPUTE_PGM_RSRC2:TIDIG_COMP_CNT: 0
; COMPUTE_PGM_RSRC3_GFX90A:ACCUM_OFFSET: 10
; COMPUTE_PGM_RSRC3_GFX90A:TG_SPLIT: 0
	.section	.text._ZN9rocsolver6v33100L18larfg_kernel_smallILi128E19rocblas_complex_numIdEldPS3_EEvT1_T3_llPT2_llS6_lS5_lPT0_l,"axG",@progbits,_ZN9rocsolver6v33100L18larfg_kernel_smallILi128E19rocblas_complex_numIdEldPS3_EEvT1_T3_llPT2_llS6_lS5_lPT0_l,comdat
	.globl	_ZN9rocsolver6v33100L18larfg_kernel_smallILi128E19rocblas_complex_numIdEldPS3_EEvT1_T3_llPT2_llS6_lS5_lPT0_l ; -- Begin function _ZN9rocsolver6v33100L18larfg_kernel_smallILi128E19rocblas_complex_numIdEldPS3_EEvT1_T3_llPT2_llS6_lS5_lPT0_l
	.p2align	8
	.type	_ZN9rocsolver6v33100L18larfg_kernel_smallILi128E19rocblas_complex_numIdEldPS3_EEvT1_T3_llPT2_llS6_lS5_lPT0_l,@function
_ZN9rocsolver6v33100L18larfg_kernel_smallILi128E19rocblas_complex_numIdEldPS3_EEvT1_T3_llPT2_llS6_lS5_lPT0_l: ; @_ZN9rocsolver6v33100L18larfg_kernel_smallILi128E19rocblas_complex_numIdEldPS3_EEvT1_T3_llPT2_llS6_lS5_lPT0_l
; %bb.0:
	s_load_dwordx16 s[4:19], s[0:1], 0x0
	s_mov_b64 s[28:29], 0
	s_waitcnt lgkmcnt(0)
	s_cmp_eq_u64 s[12:13], 0
	s_cbranch_scc1 .LBB11_2
; %bb.1:
	s_mul_i32 s2, s17, s3
	s_mul_hi_u32 s17, s16, s3
	s_add_i32 s17, s17, s2
	s_mul_i32 s16, s16, s3
	s_lshl_b64 s[16:17], s[16:17], 3
	s_add_u32 s2, s12, s16
	s_addc_u32 s16, s13, s17
	s_lshl_b64 s[12:13], s[14:15], 3
	s_add_u32 s28, s2, s12
	s_addc_u32 s29, s16, s13
.LBB11_2:
	s_load_dwordx8 s[20:27], s[0:1], 0x40
	s_load_dwordx2 s[30:31], s[0:1], 0x60
	s_add_u32 s12, s4, -1
	v_mov_b32_e32 v1, 0
	s_addc_u32 s13, s5, -1
	v_cmp_gt_i64_e64 s[0:1], s[12:13], v[0:1]
	v_mov_b64_e32 v[2:3], 0
	s_waitcnt lgkmcnt(0)
	s_mul_i32 s33, s25, s3
	s_mul_hi_u32 s36, s24, s3
	s_mul_i32 s14, s24, s3
	v_mov_b64_e32 v[4:5], 0
	s_and_saveexec_b64 s[4:5], s[0:1]
	s_cbranch_execz .LBB11_6
; %bb.3:
	v_mad_u64_u32 v[2:3], s[24:25], s22, v0, 0
	v_mov_b32_e32 v4, v3
	s_add_i32 s15, s36, s33
	v_mad_u64_u32 v[4:5], s[24:25], s23, v0, v[4:5]
	s_lshl_b64 s[16:17], s[14:15], 4
	s_lshl_b64 s[24:25], s[20:21], 4
	s_add_u32 s2, s18, s24
	s_addc_u32 s15, s19, s25
	s_add_u32 s16, s2, s16
	v_mov_b32_e32 v3, v4
	s_addc_u32 s17, s15, s17
	v_lshl_add_u64 v[6:7], v[2:3], 4, s[16:17]
	s_lshl_b64 s[16:17], s[22:23], 11
	v_mov_b64_e32 v[2:3], 0
	s_mov_b64 s[24:25], 0
	s_mov_b64 s[34:35], 0x80
	v_mov_b64_e32 v[8:9], v[0:1]
	v_mov_b64_e32 v[4:5], 0
.LBB11_4:                               ; =>This Inner Loop Header: Depth=1
	global_load_dwordx4 v[10:13], v[6:7], off
	v_lshl_add_u64 v[8:9], v[8:9], 0, s[34:35]
	v_cmp_le_i64_e32 vcc, s[12:13], v[8:9]
	v_lshl_add_u64 v[6:7], v[6:7], 0, s[16:17]
	s_or_b64 s[24:25], vcc, s[24:25]
	s_waitcnt vmcnt(0)
	v_mul_f64 v[14:15], v[12:13], v[12:13]
	v_mul_f64 v[16:17], v[10:11], v[12:13]
	v_fmac_f64_e32 v[14:15], v[10:11], v[10:11]
	v_fma_f64 v[10:11], v[10:11], v[12:13], -v[16:17]
	v_add_f64 v[4:5], v[4:5], v[14:15]
	v_add_f64 v[2:3], v[2:3], v[10:11]
	s_andn2_b64 exec, exec, s[24:25]
	s_cbranch_execnz .LBB11_4
; %bb.5:
	s_or_b64 exec, exec, s[24:25]
.LBB11_6:
	s_or_b64 exec, exec, s[4:5]
	v_mbcnt_lo_u32_b32 v6, -1, 0
	v_mbcnt_hi_u32_b32 v10, -1, v6
	v_and_b32_e32 v11, 63, v10
	v_cmp_ne_u32_e32 vcc, 63, v11
	s_nop 1
	v_addc_co_u32_e32 v6, vcc, 0, v10, vcc
	v_lshlrev_b32_e32 v9, 2, v6
	ds_bpermute_b32 v6, v9, v4
	ds_bpermute_b32 v7, v9, v5
	ds_bpermute_b32 v8, v9, v2
	ds_bpermute_b32 v9, v9, v3
	v_cmp_gt_u32_e32 vcc, 62, v11
	s_waitcnt lgkmcnt(2)
	v_add_f64 v[4:5], v[4:5], v[6:7]
	v_cndmask_b32_e64 v6, 0, 2, vcc
	s_waitcnt lgkmcnt(0)
	v_add_f64 v[2:3], v[2:3], v[8:9]
	v_add_lshl_u32 v9, v6, v10, 2
	ds_bpermute_b32 v6, v9, v4
	ds_bpermute_b32 v7, v9, v5
	ds_bpermute_b32 v8, v9, v2
	ds_bpermute_b32 v9, v9, v3
	v_cmp_gt_u32_e32 vcc, 60, v11
	s_waitcnt lgkmcnt(2)
	v_add_f64 v[4:5], v[4:5], v[6:7]
	v_cndmask_b32_e64 v6, 0, 4, vcc
	s_waitcnt lgkmcnt(0)
	v_add_f64 v[2:3], v[2:3], v[8:9]
	v_add_lshl_u32 v9, v6, v10, 2
	;; [unrolled: 11-line block ×4, first 2 shown]
	ds_bpermute_b32 v6, v9, v4
	ds_bpermute_b32 v7, v9, v5
	;; [unrolled: 1-line block ×4, first 2 shown]
	s_waitcnt lgkmcnt(2)
	v_add_f64 v[4:5], v[4:5], v[6:7]
	s_waitcnt lgkmcnt(0)
	v_add_f64 v[6:7], v[2:3], v[8:9]
	v_mov_b32_e32 v2, 0x80
	v_lshl_or_b32 v9, v10, 2, v2
	ds_bpermute_b32 v2, v9, v4
	ds_bpermute_b32 v3, v9, v5
	;; [unrolled: 1-line block ×4, first 2 shown]
	s_waitcnt lgkmcnt(2)
	v_add_f64 v[2:3], v[4:5], v[2:3]
	s_waitcnt lgkmcnt(0)
	v_add_f64 v[4:5], v[6:7], v[8:9]
	v_and_b32_e32 v6, 63, v0
	v_cmp_eq_u32_e32 vcc, 0, v6
	s_and_saveexec_b64 s[4:5], vcc
; %bb.7:
	v_lshrrev_b32_e32 v6, 2, v0
	ds_write_b128 v6, v[2:5]
; %bb.8:
	s_or_b64 exec, exec, s[4:5]
	v_cmp_eq_u32_e32 vcc, 0, v0
	s_waitcnt lgkmcnt(0)
	s_barrier
	s_and_saveexec_b64 s[4:5], vcc
	s_cbranch_execz .LBB11_10
; %bb.9:
	v_mov_b32_e32 v10, 0
	ds_read_b128 v[6:9], v10 offset:16
	s_waitcnt lgkmcnt(0)
	v_add_f64 v[4:5], v[4:5], v[8:9]
	v_add_f64 v[2:3], v[2:3], v[6:7]
	ds_write_b128 v10, v[2:5]
.LBB11_10:
	s_or_b64 exec, exec, s[4:5]
	s_waitcnt lgkmcnt(0)
	s_barrier
	s_and_saveexec_b64 s[16:17], vcc
	s_cbranch_execz .LBB11_20
; %bb.11:
	s_mul_i32 s2, s11, s3
	s_mul_hi_u32 s4, s10, s3
	s_add_i32 s5, s4, s2
	s_mul_i32 s4, s10, s3
	s_lshl_b64 s[4:5], s[4:5], 4
	s_add_u32 s2, s6, s4
	s_addc_u32 s6, s7, s5
	s_lshl_b64 s[4:5], s[8:9], 4
	s_add_u32 s8, s2, s4
	s_addc_u32 s9, s6, s5
	v_mov_b32_e32 v2, 0
	s_load_dwordx2 s[10:11], s[8:9], 0x8
	ds_read_b64 v[8:9], v2
	s_mul_i32 s2, s31, s3
	s_mul_hi_u32 s4, s30, s3
	s_add_i32 s5, s4, s2
	s_mul_i32 s4, s30, s3
	s_lshl_b64 s[2:3], s[4:5], 4
	s_add_u32 s24, s26, s2
	s_addc_u32 s25, s27, s3
	s_waitcnt lgkmcnt(0)
	v_mul_f64 v[6:7], s[10:11], s[10:11]
	v_max_f64 v[4:5], v[8:9], v[8:9]
	s_cmp_eq_u64 s[28:29], 0
	v_max_f64 v[4:5], v[4:5], v[6:7]
	s_cselect_b64 s[2:3], -1, 0
	s_cmp_lg_u64 s[28:29], 0
	v_cmp_nlt_f64_e32 vcc, 0, v[4:5]
	s_mov_b64 s[30:31], 0
	s_cselect_b64 s[26:27], -1, 0
	s_cbranch_vccz .LBB11_14
; %bb.12:
	v_mov_b32_e32 v3, 0x3ff00000
	v_mov_b32_e32 v4, v2
	;; [unrolled: 1-line block ×3, first 2 shown]
	ds_write_b128 v2, v[2:5]
	v_mov_b32_e32 v3, v2
	s_mov_b64 s[6:7], 0
	s_and_b64 vcc, exec, s[26:27]
	global_store_dwordx4 v2, v[2:5], s[24:25]
                                        ; implicit-def: $vgpr4_vgpr5
	s_cbranch_vccz .LBB11_15
; %bb.13:
	s_nop 0
	v_mov_b32_e32 v2, 0
	global_load_dwordx2 v[2:3], v2, s[8:9]
	s_mov_b64 s[4:5], -1
	s_and_b64 vcc, exec, s[6:7]
	s_cbranch_vccnz .LBB11_16
	s_branch .LBB11_17
.LBB11_14:
	s_mov_b64 s[6:7], -1
.LBB11_15:
	s_mov_b64 s[4:5], 0
                                        ; implicit-def: $vgpr2_vgpr3
	s_and_b64 vcc, exec, s[6:7]
	s_cbranch_vccz .LBB11_17
.LBB11_16:
	v_mov_b32_e32 v40, 0
	global_load_dwordx2 v[4:5], v40, s[8:9]
	s_mov_b32 s4, 0
	s_brev_b32 s5, 8
	v_mov_b32_e32 v14, 0x260
	s_mov_b64 s[30:31], s[2:3]
	s_waitcnt vmcnt(0)
	v_fma_f64 v[2:3], v[4:5], v[4:5], v[6:7]
	v_add_f64 v[2:3], v[8:9], v[2:3]
	v_cmp_gt_f64_e32 vcc, s[4:5], v[2:3]
	s_and_b64 s[4:5], vcc, exec
	s_cselect_b32 s4, 0x100, 0
	v_ldexp_f64 v[2:3], v[2:3], s4
	v_rsq_f64_e32 v[8:9], v[2:3]
	s_cselect_b32 s2, 0xffffff80, 0
	v_cmp_class_f64_e32 vcc, v[2:3], v14
	v_mul_f64 v[10:11], v[2:3], v[8:9]
	v_mul_f64 v[8:9], v[8:9], 0.5
	v_fma_f64 v[12:13], -v[8:9], v[10:11], 0.5
	v_fmac_f64_e32 v[10:11], v[10:11], v[12:13]
	v_fmac_f64_e32 v[8:9], v[8:9], v[12:13]
	v_fma_f64 v[12:13], -v[10:11], v[10:11], v[2:3]
	v_fmac_f64_e32 v[10:11], v[12:13], v[8:9]
	v_fma_f64 v[12:13], -v[10:11], v[10:11], v[2:3]
	v_fmac_f64_e32 v[10:11], v[12:13], v[8:9]
	v_ldexp_f64 v[8:9], v[10:11], s2
	v_cndmask_b32_e32 v3, v9, v3, vcc
	v_cndmask_b32_e32 v2, v8, v2, vcc
	v_xor_b32_e32 v8, 0x80000000, v3
	v_cmp_le_f64_e32 vcc, 0, v[4:5]
	s_nop 1
	v_cndmask_b32_e32 v3, v3, v8, vcc
	v_add_f64 v[8:9], v[4:5], -v[2:3]
	v_add_f64 v[10:11], v[2:3], -v[4:5]
	v_div_scale_f64 v[4:5], s[2:3], v[2:3], v[2:3], -s[10:11]
	v_fmac_f64_e32 v[6:7], v[8:9], v[8:9]
	v_div_scale_f64 v[14:15], s[4:5], v[2:3], v[2:3], v[10:11]
	v_rcp_f64_e32 v[18:19], v[4:5]
	v_div_scale_f64 v[20:21], s[6:7], v[6:7], v[6:7], v[8:9]
	v_div_scale_f64 v[24:25], s[6:7], v[6:7], v[6:7], -s[10:11]
	v_rcp_f64_e32 v[28:29], v[14:15]
	v_rcp_f64_e32 v[30:31], v[20:21]
	;; [unrolled: 1-line block ×3, first 2 shown]
	v_fma_f64 v[34:35], -v[4:5], v[18:19], 1.0
	v_fma_f64 v[36:37], -v[14:15], v[28:29], 1.0
	v_fmac_f64_e32 v[18:19], v[18:19], v[34:35]
	v_fma_f64 v[34:35], -v[20:21], v[30:31], 1.0
	v_fma_f64 v[38:39], -v[24:25], v[32:33], 1.0
	v_fmac_f64_e32 v[28:29], v[28:29], v[36:37]
	v_fma_f64 v[36:37], -v[4:5], v[18:19], 1.0
	v_fmac_f64_e32 v[30:31], v[30:31], v[34:35]
	v_div_scale_f64 v[12:13], s[2:3], -s[10:11], v[2:3], -s[10:11]
	v_fmac_f64_e32 v[32:33], v[32:33], v[38:39]
	v_fma_f64 v[34:35], -v[14:15], v[28:29], 1.0
	v_fmac_f64_e32 v[18:19], v[18:19], v[36:37]
	v_fma_f64 v[36:37], -v[20:21], v[30:31], 1.0
	v_div_scale_f64 v[16:17], s[4:5], v[10:11], v[2:3], v[10:11]
	v_div_scale_f64 v[22:23], vcc, v[8:9], v[6:7], v[8:9]
	v_fma_f64 v[38:39], -v[24:25], v[32:33], 1.0
	v_fmac_f64_e32 v[28:29], v[28:29], v[34:35]
	v_mul_f64 v[34:35], v[12:13], v[18:19]
	v_fmac_f64_e32 v[30:31], v[30:31], v[36:37]
	v_div_scale_f64 v[26:27], s[6:7], -s[10:11], v[6:7], -s[10:11]
	v_fmac_f64_e32 v[32:33], v[32:33], v[38:39]
	v_mul_f64 v[36:37], v[16:17], v[28:29]
	v_fma_f64 v[12:13], -v[4:5], v[34:35], v[12:13]
	v_mul_f64 v[4:5], v[22:23], v[30:31]
	v_mul_f64 v[38:39], v[26:27], v[32:33]
	v_fma_f64 v[14:15], -v[14:15], v[36:37], v[16:17]
	v_fma_f64 v[16:17], -v[20:21], v[4:5], v[22:23]
	;; [unrolled: 1-line block ×3, first 2 shown]
	v_div_fmas_f64 v[4:5], v[16:17], v[30:31], v[4:5]
	s_mov_b64 vcc, s[6:7]
	v_div_fixup_f64 v[4:5], v[4:5], v[6:7], v[8:9]
	v_div_fmas_f64 v[8:9], v[20:21], v[32:33], v[38:39]
	s_mov_b64 vcc, s[4:5]
	v_div_fixup_f64 v[6:7], v[8:9], v[6:7], -s[10:11]
	v_div_fmas_f64 v[8:9], v[14:15], v[28:29], v[36:37]
	s_mov_b64 vcc, s[2:3]
	ds_write_b128 v40, v[4:7]
	v_div_fmas_f64 v[6:7], v[12:13], v[18:19], v[34:35]
	v_div_fixup_f64 v[4:5], v[8:9], v[2:3], v[10:11]
	v_div_fixup_f64 v[6:7], v[6:7], v[2:3], -s[10:11]
	s_mov_b64 s[4:5], s[26:27]
	global_store_dwordx4 v40, v[4:7], s[24:25]
.LBB11_17:
	s_andn2_b64 vcc, exec, s[4:5]
	s_cbranch_vccz .LBB11_24
; %bb.18:
	s_andn2_b64 vcc, exec, s[30:31]
	s_cbranch_vccnz .LBB11_20
.LBB11_19:
	v_mov_b32_e32 v4, 0
	v_mov_b32_e32 v5, v4
	s_waitcnt vmcnt(0)
	global_store_dwordx4 v4, v[2:5], s[8:9]
.LBB11_20:
	s_or_b64 exec, exec, s[16:17]
	s_waitcnt lgkmcnt(0)
	s_barrier
	s_and_saveexec_b64 s[2:3], s[0:1]
	s_cbranch_execz .LBB11_23
; %bb.21:
	v_mad_u64_u32 v[6:7], s[2:3], s22, v0, 0
	v_mov_b32_e32 v8, v7
	s_add_i32 s15, s36, s33
	v_mad_u64_u32 v[8:9], s[2:3], s23, v0, v[8:9]
	s_lshl_b64 s[0:1], s[14:15], 4
	s_lshl_b64 s[2:3], s[20:21], 4
	s_waitcnt vmcnt(0)
	v_mov_b32_e32 v2, 0
	s_add_u32 s2, s18, s2
	ds_read_b128 v[2:5], v2
	s_addc_u32 s3, s19, s3
	s_add_u32 s0, s2, s0
	v_mov_b32_e32 v7, v8
	s_addc_u32 s1, s3, s1
	v_lshl_add_u64 v[6:7], v[6:7], 4, s[0:1]
	v_lshl_add_u64 v[6:7], v[6:7], 0, 8
	s_lshl_b64 s[0:1], s[22:23], 11
	s_mov_b64 s[2:3], 0
	s_mov_b64 s[4:5], 0x80
.LBB11_22:                              ; =>This Inner Loop Header: Depth=1
	global_load_dwordx4 v[8:11], v[6:7], off offset:-8
	v_lshl_add_u64 v[0:1], v[0:1], 0, s[4:5]
	v_cmp_le_i64_e32 vcc, s[12:13], v[0:1]
	s_or_b64 s[2:3], vcc, s[2:3]
	s_waitcnt vmcnt(0) lgkmcnt(0)
	v_mul_f64 v[14:15], v[4:5], v[10:11]
	v_mul_f64 v[12:13], v[2:3], v[10:11]
	v_fma_f64 v[10:11], v[2:3], v[8:9], -v[14:15]
	v_fmac_f64_e32 v[12:13], v[4:5], v[8:9]
	global_store_dwordx4 v[6:7], v[10:13], off offset:-8
	v_lshl_add_u64 v[6:7], v[6:7], 0, s[0:1]
	s_andn2_b64 exec, exec, s[2:3]
	s_cbranch_execnz .LBB11_22
.LBB11_23:
	s_endpgm
.LBB11_24:
	v_mov_b32_e32 v4, 0
	s_waitcnt vmcnt(0)
	global_store_dwordx2 v4, v[2:3], s[28:29]
	v_mov_b64_e32 v[2:3], 1.0
	s_branch .LBB11_19
	.section	.rodata,"a",@progbits
	.p2align	6, 0x0
	.amdhsa_kernel _ZN9rocsolver6v33100L18larfg_kernel_smallILi128E19rocblas_complex_numIdEldPS3_EEvT1_T3_llPT2_llS6_lS5_lPT0_l
		.amdhsa_group_segment_fixed_size 32
		.amdhsa_private_segment_fixed_size 0
		.amdhsa_kernarg_size 104
		.amdhsa_user_sgpr_count 2
		.amdhsa_user_sgpr_dispatch_ptr 0
		.amdhsa_user_sgpr_queue_ptr 0
		.amdhsa_user_sgpr_kernarg_segment_ptr 1
		.amdhsa_user_sgpr_dispatch_id 0
		.amdhsa_user_sgpr_kernarg_preload_length 0
		.amdhsa_user_sgpr_kernarg_preload_offset 0
		.amdhsa_user_sgpr_private_segment_size 0
		.amdhsa_uses_dynamic_stack 0
		.amdhsa_enable_private_segment 0
		.amdhsa_system_sgpr_workgroup_id_x 1
		.amdhsa_system_sgpr_workgroup_id_y 0
		.amdhsa_system_sgpr_workgroup_id_z 1
		.amdhsa_system_sgpr_workgroup_info 0
		.amdhsa_system_vgpr_workitem_id 0
		.amdhsa_next_free_vgpr 41
		.amdhsa_next_free_sgpr 37
		.amdhsa_accum_offset 44
		.amdhsa_reserve_vcc 1
		.amdhsa_float_round_mode_32 0
		.amdhsa_float_round_mode_16_64 0
		.amdhsa_float_denorm_mode_32 3
		.amdhsa_float_denorm_mode_16_64 3
		.amdhsa_dx10_clamp 1
		.amdhsa_ieee_mode 1
		.amdhsa_fp16_overflow 0
		.amdhsa_tg_split 0
		.amdhsa_exception_fp_ieee_invalid_op 0
		.amdhsa_exception_fp_denorm_src 0
		.amdhsa_exception_fp_ieee_div_zero 0
		.amdhsa_exception_fp_ieee_overflow 0
		.amdhsa_exception_fp_ieee_underflow 0
		.amdhsa_exception_fp_ieee_inexact 0
		.amdhsa_exception_int_div_zero 0
	.end_amdhsa_kernel
	.section	.text._ZN9rocsolver6v33100L18larfg_kernel_smallILi128E19rocblas_complex_numIdEldPS3_EEvT1_T3_llPT2_llS6_lS5_lPT0_l,"axG",@progbits,_ZN9rocsolver6v33100L18larfg_kernel_smallILi128E19rocblas_complex_numIdEldPS3_EEvT1_T3_llPT2_llS6_lS5_lPT0_l,comdat
.Lfunc_end11:
	.size	_ZN9rocsolver6v33100L18larfg_kernel_smallILi128E19rocblas_complex_numIdEldPS3_EEvT1_T3_llPT2_llS6_lS5_lPT0_l, .Lfunc_end11-_ZN9rocsolver6v33100L18larfg_kernel_smallILi128E19rocblas_complex_numIdEldPS3_EEvT1_T3_llPT2_llS6_lS5_lPT0_l
                                        ; -- End function
	.set _ZN9rocsolver6v33100L18larfg_kernel_smallILi128E19rocblas_complex_numIdEldPS3_EEvT1_T3_llPT2_llS6_lS5_lPT0_l.num_vgpr, 41
	.set _ZN9rocsolver6v33100L18larfg_kernel_smallILi128E19rocblas_complex_numIdEldPS3_EEvT1_T3_llPT2_llS6_lS5_lPT0_l.num_agpr, 0
	.set _ZN9rocsolver6v33100L18larfg_kernel_smallILi128E19rocblas_complex_numIdEldPS3_EEvT1_T3_llPT2_llS6_lS5_lPT0_l.numbered_sgpr, 37
	.set _ZN9rocsolver6v33100L18larfg_kernel_smallILi128E19rocblas_complex_numIdEldPS3_EEvT1_T3_llPT2_llS6_lS5_lPT0_l.num_named_barrier, 0
	.set _ZN9rocsolver6v33100L18larfg_kernel_smallILi128E19rocblas_complex_numIdEldPS3_EEvT1_T3_llPT2_llS6_lS5_lPT0_l.private_seg_size, 0
	.set _ZN9rocsolver6v33100L18larfg_kernel_smallILi128E19rocblas_complex_numIdEldPS3_EEvT1_T3_llPT2_llS6_lS5_lPT0_l.uses_vcc, 1
	.set _ZN9rocsolver6v33100L18larfg_kernel_smallILi128E19rocblas_complex_numIdEldPS3_EEvT1_T3_llPT2_llS6_lS5_lPT0_l.uses_flat_scratch, 0
	.set _ZN9rocsolver6v33100L18larfg_kernel_smallILi128E19rocblas_complex_numIdEldPS3_EEvT1_T3_llPT2_llS6_lS5_lPT0_l.has_dyn_sized_stack, 0
	.set _ZN9rocsolver6v33100L18larfg_kernel_smallILi128E19rocblas_complex_numIdEldPS3_EEvT1_T3_llPT2_llS6_lS5_lPT0_l.has_recursion, 0
	.set _ZN9rocsolver6v33100L18larfg_kernel_smallILi128E19rocblas_complex_numIdEldPS3_EEvT1_T3_llPT2_llS6_lS5_lPT0_l.has_indirect_call, 0
	.section	.AMDGPU.csdata,"",@progbits
; Kernel info:
; codeLenInByte = 1936
; TotalNumSgprs: 43
; NumVgprs: 41
; NumAgprs: 0
; TotalNumVgprs: 41
; ScratchSize: 0
; MemoryBound: 0
; FloatMode: 240
; IeeeMode: 1
; LDSByteSize: 32 bytes/workgroup (compile time only)
; SGPRBlocks: 5
; VGPRBlocks: 5
; NumSGPRsForWavesPerEU: 43
; NumVGPRsForWavesPerEU: 41
; AccumOffset: 44
; Occupancy: 8
; WaveLimiterHint : 0
; COMPUTE_PGM_RSRC2:SCRATCH_EN: 0
; COMPUTE_PGM_RSRC2:USER_SGPR: 2
; COMPUTE_PGM_RSRC2:TRAP_HANDLER: 0
; COMPUTE_PGM_RSRC2:TGID_X_EN: 1
; COMPUTE_PGM_RSRC2:TGID_Y_EN: 0
; COMPUTE_PGM_RSRC2:TGID_Z_EN: 1
; COMPUTE_PGM_RSRC2:TIDIG_COMP_CNT: 0
; COMPUTE_PGM_RSRC3_GFX90A:ACCUM_OFFSET: 10
; COMPUTE_PGM_RSRC3_GFX90A:TG_SPLIT: 0
	.section	.text._ZN9rocsolver6v33100L18larfg_kernel_smallILi256E19rocblas_complex_numIdEldPS3_EEvT1_T3_llPT2_llS6_lS5_lPT0_l,"axG",@progbits,_ZN9rocsolver6v33100L18larfg_kernel_smallILi256E19rocblas_complex_numIdEldPS3_EEvT1_T3_llPT2_llS6_lS5_lPT0_l,comdat
	.globl	_ZN9rocsolver6v33100L18larfg_kernel_smallILi256E19rocblas_complex_numIdEldPS3_EEvT1_T3_llPT2_llS6_lS5_lPT0_l ; -- Begin function _ZN9rocsolver6v33100L18larfg_kernel_smallILi256E19rocblas_complex_numIdEldPS3_EEvT1_T3_llPT2_llS6_lS5_lPT0_l
	.p2align	8
	.type	_ZN9rocsolver6v33100L18larfg_kernel_smallILi256E19rocblas_complex_numIdEldPS3_EEvT1_T3_llPT2_llS6_lS5_lPT0_l,@function
_ZN9rocsolver6v33100L18larfg_kernel_smallILi256E19rocblas_complex_numIdEldPS3_EEvT1_T3_llPT2_llS6_lS5_lPT0_l: ; @_ZN9rocsolver6v33100L18larfg_kernel_smallILi256E19rocblas_complex_numIdEldPS3_EEvT1_T3_llPT2_llS6_lS5_lPT0_l
; %bb.0:
	s_load_dwordx16 s[4:19], s[0:1], 0x0
	s_mov_b64 s[28:29], 0
	s_waitcnt lgkmcnt(0)
	s_cmp_eq_u64 s[12:13], 0
	s_cbranch_scc1 .LBB12_2
; %bb.1:
	s_mul_i32 s2, s17, s3
	s_mul_hi_u32 s17, s16, s3
	s_add_i32 s17, s17, s2
	s_mul_i32 s16, s16, s3
	s_lshl_b64 s[16:17], s[16:17], 3
	s_add_u32 s2, s12, s16
	s_addc_u32 s16, s13, s17
	s_lshl_b64 s[12:13], s[14:15], 3
	s_add_u32 s28, s2, s12
	s_addc_u32 s29, s16, s13
.LBB12_2:
	s_load_dwordx8 s[20:27], s[0:1], 0x40
	s_load_dwordx2 s[30:31], s[0:1], 0x60
	s_add_u32 s12, s4, -1
	v_mov_b32_e32 v1, 0
	s_addc_u32 s13, s5, -1
	v_cmp_gt_i64_e64 s[0:1], s[12:13], v[0:1]
	v_mov_b64_e32 v[2:3], 0
	s_waitcnt lgkmcnt(0)
	s_mul_i32 s33, s25, s3
	s_mul_hi_u32 s36, s24, s3
	s_mul_i32 s14, s24, s3
	v_mov_b64_e32 v[4:5], 0
	s_and_saveexec_b64 s[4:5], s[0:1]
	s_cbranch_execz .LBB12_6
; %bb.3:
	v_mad_u64_u32 v[2:3], s[24:25], s22, v0, 0
	v_mov_b32_e32 v4, v3
	s_add_i32 s15, s36, s33
	v_mad_u64_u32 v[4:5], s[24:25], s23, v0, v[4:5]
	s_lshl_b64 s[16:17], s[14:15], 4
	s_lshl_b64 s[24:25], s[20:21], 4
	s_add_u32 s2, s18, s24
	s_addc_u32 s15, s19, s25
	s_add_u32 s16, s2, s16
	v_mov_b32_e32 v3, v4
	s_addc_u32 s17, s15, s17
	v_lshl_add_u64 v[6:7], v[2:3], 4, s[16:17]
	s_lshl_b64 s[16:17], s[22:23], 12
	v_mov_b64_e32 v[2:3], 0
	s_mov_b64 s[24:25], 0
	s_mov_b64 s[34:35], 0x100
	v_mov_b64_e32 v[8:9], v[0:1]
	v_mov_b64_e32 v[4:5], 0
.LBB12_4:                               ; =>This Inner Loop Header: Depth=1
	global_load_dwordx4 v[10:13], v[6:7], off
	v_lshl_add_u64 v[8:9], v[8:9], 0, s[34:35]
	v_cmp_le_i64_e32 vcc, s[12:13], v[8:9]
	v_lshl_add_u64 v[6:7], v[6:7], 0, s[16:17]
	s_or_b64 s[24:25], vcc, s[24:25]
	s_waitcnt vmcnt(0)
	v_mul_f64 v[14:15], v[12:13], v[12:13]
	v_mul_f64 v[16:17], v[10:11], v[12:13]
	v_fmac_f64_e32 v[14:15], v[10:11], v[10:11]
	v_fma_f64 v[10:11], v[10:11], v[12:13], -v[16:17]
	v_add_f64 v[4:5], v[4:5], v[14:15]
	v_add_f64 v[2:3], v[2:3], v[10:11]
	s_andn2_b64 exec, exec, s[24:25]
	s_cbranch_execnz .LBB12_4
; %bb.5:
	s_or_b64 exec, exec, s[24:25]
.LBB12_6:
	s_or_b64 exec, exec, s[4:5]
	v_mbcnt_lo_u32_b32 v6, -1, 0
	v_mbcnt_hi_u32_b32 v10, -1, v6
	v_and_b32_e32 v11, 63, v10
	v_cmp_ne_u32_e32 vcc, 63, v11
	s_nop 1
	v_addc_co_u32_e32 v6, vcc, 0, v10, vcc
	v_lshlrev_b32_e32 v9, 2, v6
	ds_bpermute_b32 v6, v9, v4
	ds_bpermute_b32 v7, v9, v5
	ds_bpermute_b32 v8, v9, v2
	ds_bpermute_b32 v9, v9, v3
	v_cmp_gt_u32_e32 vcc, 62, v11
	s_waitcnt lgkmcnt(2)
	v_add_f64 v[4:5], v[4:5], v[6:7]
	v_cndmask_b32_e64 v6, 0, 2, vcc
	s_waitcnt lgkmcnt(0)
	v_add_f64 v[2:3], v[2:3], v[8:9]
	v_add_lshl_u32 v9, v6, v10, 2
	ds_bpermute_b32 v6, v9, v4
	ds_bpermute_b32 v7, v9, v5
	ds_bpermute_b32 v8, v9, v2
	ds_bpermute_b32 v9, v9, v3
	v_cmp_gt_u32_e32 vcc, 60, v11
	s_waitcnt lgkmcnt(2)
	v_add_f64 v[4:5], v[4:5], v[6:7]
	v_cndmask_b32_e64 v6, 0, 4, vcc
	s_waitcnt lgkmcnt(0)
	v_add_f64 v[2:3], v[2:3], v[8:9]
	v_add_lshl_u32 v9, v6, v10, 2
	;; [unrolled: 11-line block ×4, first 2 shown]
	ds_bpermute_b32 v6, v9, v4
	ds_bpermute_b32 v7, v9, v5
	;; [unrolled: 1-line block ×4, first 2 shown]
	s_waitcnt lgkmcnt(2)
	v_add_f64 v[4:5], v[4:5], v[6:7]
	s_waitcnt lgkmcnt(0)
	v_add_f64 v[6:7], v[2:3], v[8:9]
	v_mov_b32_e32 v2, 0x80
	v_lshl_or_b32 v9, v10, 2, v2
	ds_bpermute_b32 v2, v9, v4
	ds_bpermute_b32 v3, v9, v5
	;; [unrolled: 1-line block ×4, first 2 shown]
	s_waitcnt lgkmcnt(2)
	v_add_f64 v[2:3], v[4:5], v[2:3]
	s_waitcnt lgkmcnt(0)
	v_add_f64 v[4:5], v[6:7], v[8:9]
	v_and_b32_e32 v6, 63, v0
	v_cmp_eq_u32_e32 vcc, 0, v6
	s_and_saveexec_b64 s[4:5], vcc
; %bb.7:
	v_lshrrev_b32_e32 v6, 2, v0
	ds_write_b128 v6, v[2:5]
; %bb.8:
	s_or_b64 exec, exec, s[4:5]
	v_cmp_eq_u32_e32 vcc, 0, v0
	s_waitcnt lgkmcnt(0)
	s_barrier
	s_and_saveexec_b64 s[4:5], vcc
	s_cbranch_execz .LBB12_10
; %bb.9:
	v_mov_b32_e32 v18, 0
	ds_read_b128 v[6:9], v18 offset:16
	ds_read_b128 v[10:13], v18 offset:32
	;; [unrolled: 1-line block ×3, first 2 shown]
	s_waitcnt lgkmcnt(2)
	v_add_f64 v[2:3], v[2:3], v[6:7]
	v_add_f64 v[4:5], v[4:5], v[8:9]
	s_waitcnt lgkmcnt(1)
	v_add_f64 v[2:3], v[2:3], v[10:11]
	v_add_f64 v[4:5], v[4:5], v[12:13]
	;; [unrolled: 3-line block ×3, first 2 shown]
	ds_write_b128 v18, v[2:5]
.LBB12_10:
	s_or_b64 exec, exec, s[4:5]
	s_waitcnt lgkmcnt(0)
	s_barrier
	s_and_saveexec_b64 s[16:17], vcc
	s_cbranch_execz .LBB12_20
; %bb.11:
	s_mul_i32 s2, s11, s3
	s_mul_hi_u32 s4, s10, s3
	s_add_i32 s5, s4, s2
	s_mul_i32 s4, s10, s3
	s_lshl_b64 s[4:5], s[4:5], 4
	s_add_u32 s2, s6, s4
	s_addc_u32 s6, s7, s5
	s_lshl_b64 s[4:5], s[8:9], 4
	s_add_u32 s8, s2, s4
	s_addc_u32 s9, s6, s5
	v_mov_b32_e32 v2, 0
	s_load_dwordx2 s[10:11], s[8:9], 0x8
	ds_read_b64 v[8:9], v2
	s_mul_i32 s2, s31, s3
	s_mul_hi_u32 s4, s30, s3
	s_add_i32 s5, s4, s2
	s_mul_i32 s4, s30, s3
	s_lshl_b64 s[2:3], s[4:5], 4
	s_add_u32 s24, s26, s2
	s_addc_u32 s25, s27, s3
	s_waitcnt lgkmcnt(0)
	v_mul_f64 v[6:7], s[10:11], s[10:11]
	v_max_f64 v[4:5], v[8:9], v[8:9]
	s_cmp_eq_u64 s[28:29], 0
	v_max_f64 v[4:5], v[4:5], v[6:7]
	s_cselect_b64 s[2:3], -1, 0
	s_cmp_lg_u64 s[28:29], 0
	v_cmp_nlt_f64_e32 vcc, 0, v[4:5]
	s_mov_b64 s[30:31], 0
	s_cselect_b64 s[26:27], -1, 0
	s_cbranch_vccz .LBB12_14
; %bb.12:
	v_mov_b32_e32 v3, 0x3ff00000
	v_mov_b32_e32 v4, v2
	;; [unrolled: 1-line block ×3, first 2 shown]
	ds_write_b128 v2, v[2:5]
	v_mov_b32_e32 v3, v2
	s_mov_b64 s[6:7], 0
	s_and_b64 vcc, exec, s[26:27]
	global_store_dwordx4 v2, v[2:5], s[24:25]
                                        ; implicit-def: $vgpr4_vgpr5
	s_cbranch_vccz .LBB12_15
; %bb.13:
	s_nop 0
	v_mov_b32_e32 v2, 0
	global_load_dwordx2 v[2:3], v2, s[8:9]
	s_mov_b64 s[4:5], -1
	s_and_b64 vcc, exec, s[6:7]
	s_cbranch_vccnz .LBB12_16
	s_branch .LBB12_17
.LBB12_14:
	s_mov_b64 s[6:7], -1
.LBB12_15:
	s_mov_b64 s[4:5], 0
                                        ; implicit-def: $vgpr2_vgpr3
	s_and_b64 vcc, exec, s[6:7]
	s_cbranch_vccz .LBB12_17
.LBB12_16:
	v_mov_b32_e32 v40, 0
	global_load_dwordx2 v[4:5], v40, s[8:9]
	s_mov_b32 s4, 0
	s_brev_b32 s5, 8
	v_mov_b32_e32 v14, 0x260
	s_mov_b64 s[30:31], s[2:3]
	s_waitcnt vmcnt(0)
	v_fma_f64 v[2:3], v[4:5], v[4:5], v[6:7]
	v_add_f64 v[2:3], v[8:9], v[2:3]
	v_cmp_gt_f64_e32 vcc, s[4:5], v[2:3]
	s_and_b64 s[4:5], vcc, exec
	s_cselect_b32 s4, 0x100, 0
	v_ldexp_f64 v[2:3], v[2:3], s4
	v_rsq_f64_e32 v[8:9], v[2:3]
	s_cselect_b32 s2, 0xffffff80, 0
	v_cmp_class_f64_e32 vcc, v[2:3], v14
	v_mul_f64 v[10:11], v[2:3], v[8:9]
	v_mul_f64 v[8:9], v[8:9], 0.5
	v_fma_f64 v[12:13], -v[8:9], v[10:11], 0.5
	v_fmac_f64_e32 v[10:11], v[10:11], v[12:13]
	v_fmac_f64_e32 v[8:9], v[8:9], v[12:13]
	v_fma_f64 v[12:13], -v[10:11], v[10:11], v[2:3]
	v_fmac_f64_e32 v[10:11], v[12:13], v[8:9]
	v_fma_f64 v[12:13], -v[10:11], v[10:11], v[2:3]
	v_fmac_f64_e32 v[10:11], v[12:13], v[8:9]
	v_ldexp_f64 v[8:9], v[10:11], s2
	v_cndmask_b32_e32 v3, v9, v3, vcc
	v_cndmask_b32_e32 v2, v8, v2, vcc
	v_xor_b32_e32 v8, 0x80000000, v3
	v_cmp_le_f64_e32 vcc, 0, v[4:5]
	s_nop 1
	v_cndmask_b32_e32 v3, v3, v8, vcc
	v_add_f64 v[8:9], v[4:5], -v[2:3]
	v_add_f64 v[10:11], v[2:3], -v[4:5]
	v_div_scale_f64 v[4:5], s[2:3], v[2:3], v[2:3], -s[10:11]
	v_fmac_f64_e32 v[6:7], v[8:9], v[8:9]
	v_div_scale_f64 v[14:15], s[4:5], v[2:3], v[2:3], v[10:11]
	v_rcp_f64_e32 v[18:19], v[4:5]
	v_div_scale_f64 v[20:21], s[6:7], v[6:7], v[6:7], v[8:9]
	v_div_scale_f64 v[24:25], s[6:7], v[6:7], v[6:7], -s[10:11]
	v_rcp_f64_e32 v[28:29], v[14:15]
	v_rcp_f64_e32 v[30:31], v[20:21]
	;; [unrolled: 1-line block ×3, first 2 shown]
	v_fma_f64 v[34:35], -v[4:5], v[18:19], 1.0
	v_fma_f64 v[36:37], -v[14:15], v[28:29], 1.0
	v_fmac_f64_e32 v[18:19], v[18:19], v[34:35]
	v_fma_f64 v[34:35], -v[20:21], v[30:31], 1.0
	v_fma_f64 v[38:39], -v[24:25], v[32:33], 1.0
	v_fmac_f64_e32 v[28:29], v[28:29], v[36:37]
	v_fma_f64 v[36:37], -v[4:5], v[18:19], 1.0
	v_fmac_f64_e32 v[30:31], v[30:31], v[34:35]
	v_div_scale_f64 v[12:13], s[2:3], -s[10:11], v[2:3], -s[10:11]
	v_fmac_f64_e32 v[32:33], v[32:33], v[38:39]
	v_fma_f64 v[34:35], -v[14:15], v[28:29], 1.0
	v_fmac_f64_e32 v[18:19], v[18:19], v[36:37]
	v_fma_f64 v[36:37], -v[20:21], v[30:31], 1.0
	v_div_scale_f64 v[16:17], s[4:5], v[10:11], v[2:3], v[10:11]
	v_div_scale_f64 v[22:23], vcc, v[8:9], v[6:7], v[8:9]
	v_fma_f64 v[38:39], -v[24:25], v[32:33], 1.0
	v_fmac_f64_e32 v[28:29], v[28:29], v[34:35]
	v_mul_f64 v[34:35], v[12:13], v[18:19]
	v_fmac_f64_e32 v[30:31], v[30:31], v[36:37]
	v_div_scale_f64 v[26:27], s[6:7], -s[10:11], v[6:7], -s[10:11]
	v_fmac_f64_e32 v[32:33], v[32:33], v[38:39]
	v_mul_f64 v[36:37], v[16:17], v[28:29]
	v_fma_f64 v[12:13], -v[4:5], v[34:35], v[12:13]
	v_mul_f64 v[4:5], v[22:23], v[30:31]
	v_mul_f64 v[38:39], v[26:27], v[32:33]
	v_fma_f64 v[14:15], -v[14:15], v[36:37], v[16:17]
	v_fma_f64 v[16:17], -v[20:21], v[4:5], v[22:23]
	;; [unrolled: 1-line block ×3, first 2 shown]
	v_div_fmas_f64 v[4:5], v[16:17], v[30:31], v[4:5]
	s_mov_b64 vcc, s[6:7]
	v_div_fixup_f64 v[4:5], v[4:5], v[6:7], v[8:9]
	v_div_fmas_f64 v[8:9], v[20:21], v[32:33], v[38:39]
	s_mov_b64 vcc, s[4:5]
	v_div_fixup_f64 v[6:7], v[8:9], v[6:7], -s[10:11]
	v_div_fmas_f64 v[8:9], v[14:15], v[28:29], v[36:37]
	s_mov_b64 vcc, s[2:3]
	ds_write_b128 v40, v[4:7]
	v_div_fmas_f64 v[6:7], v[12:13], v[18:19], v[34:35]
	v_div_fixup_f64 v[4:5], v[8:9], v[2:3], v[10:11]
	v_div_fixup_f64 v[6:7], v[6:7], v[2:3], -s[10:11]
	s_mov_b64 s[4:5], s[26:27]
	global_store_dwordx4 v40, v[4:7], s[24:25]
.LBB12_17:
	s_andn2_b64 vcc, exec, s[4:5]
	s_cbranch_vccz .LBB12_24
; %bb.18:
	s_andn2_b64 vcc, exec, s[30:31]
	s_cbranch_vccnz .LBB12_20
.LBB12_19:
	v_mov_b32_e32 v4, 0
	v_mov_b32_e32 v5, v4
	s_waitcnt vmcnt(0)
	global_store_dwordx4 v4, v[2:5], s[8:9]
.LBB12_20:
	s_or_b64 exec, exec, s[16:17]
	s_waitcnt lgkmcnt(0)
	s_barrier
	s_and_saveexec_b64 s[2:3], s[0:1]
	s_cbranch_execz .LBB12_23
; %bb.21:
	v_mad_u64_u32 v[6:7], s[2:3], s22, v0, 0
	v_mov_b32_e32 v8, v7
	s_add_i32 s15, s36, s33
	v_mad_u64_u32 v[8:9], s[2:3], s23, v0, v[8:9]
	s_lshl_b64 s[0:1], s[14:15], 4
	s_lshl_b64 s[2:3], s[20:21], 4
	s_waitcnt vmcnt(0)
	v_mov_b32_e32 v2, 0
	s_add_u32 s2, s18, s2
	ds_read_b128 v[2:5], v2
	s_addc_u32 s3, s19, s3
	s_add_u32 s0, s2, s0
	v_mov_b32_e32 v7, v8
	s_addc_u32 s1, s3, s1
	v_lshl_add_u64 v[6:7], v[6:7], 4, s[0:1]
	v_lshl_add_u64 v[6:7], v[6:7], 0, 8
	s_lshl_b64 s[0:1], s[22:23], 12
	s_mov_b64 s[2:3], 0
	s_mov_b64 s[4:5], 0x100
.LBB12_22:                              ; =>This Inner Loop Header: Depth=1
	global_load_dwordx4 v[8:11], v[6:7], off offset:-8
	v_lshl_add_u64 v[0:1], v[0:1], 0, s[4:5]
	v_cmp_le_i64_e32 vcc, s[12:13], v[0:1]
	s_or_b64 s[2:3], vcc, s[2:3]
	s_waitcnt vmcnt(0) lgkmcnt(0)
	v_mul_f64 v[14:15], v[4:5], v[10:11]
	v_mul_f64 v[12:13], v[2:3], v[10:11]
	v_fma_f64 v[10:11], v[2:3], v[8:9], -v[14:15]
	v_fmac_f64_e32 v[12:13], v[4:5], v[8:9]
	global_store_dwordx4 v[6:7], v[10:13], off offset:-8
	v_lshl_add_u64 v[6:7], v[6:7], 0, s[0:1]
	s_andn2_b64 exec, exec, s[2:3]
	s_cbranch_execnz .LBB12_22
.LBB12_23:
	s_endpgm
.LBB12_24:
	v_mov_b32_e32 v4, 0
	s_waitcnt vmcnt(0)
	global_store_dwordx2 v4, v[2:3], s[28:29]
	v_mov_b64_e32 v[2:3], 1.0
	s_branch .LBB12_19
	.section	.rodata,"a",@progbits
	.p2align	6, 0x0
	.amdhsa_kernel _ZN9rocsolver6v33100L18larfg_kernel_smallILi256E19rocblas_complex_numIdEldPS3_EEvT1_T3_llPT2_llS6_lS5_lPT0_l
		.amdhsa_group_segment_fixed_size 64
		.amdhsa_private_segment_fixed_size 0
		.amdhsa_kernarg_size 104
		.amdhsa_user_sgpr_count 2
		.amdhsa_user_sgpr_dispatch_ptr 0
		.amdhsa_user_sgpr_queue_ptr 0
		.amdhsa_user_sgpr_kernarg_segment_ptr 1
		.amdhsa_user_sgpr_dispatch_id 0
		.amdhsa_user_sgpr_kernarg_preload_length 0
		.amdhsa_user_sgpr_kernarg_preload_offset 0
		.amdhsa_user_sgpr_private_segment_size 0
		.amdhsa_uses_dynamic_stack 0
		.amdhsa_enable_private_segment 0
		.amdhsa_system_sgpr_workgroup_id_x 1
		.amdhsa_system_sgpr_workgroup_id_y 0
		.amdhsa_system_sgpr_workgroup_id_z 1
		.amdhsa_system_sgpr_workgroup_info 0
		.amdhsa_system_vgpr_workitem_id 0
		.amdhsa_next_free_vgpr 41
		.amdhsa_next_free_sgpr 37
		.amdhsa_accum_offset 44
		.amdhsa_reserve_vcc 1
		.amdhsa_float_round_mode_32 0
		.amdhsa_float_round_mode_16_64 0
		.amdhsa_float_denorm_mode_32 3
		.amdhsa_float_denorm_mode_16_64 3
		.amdhsa_dx10_clamp 1
		.amdhsa_ieee_mode 1
		.amdhsa_fp16_overflow 0
		.amdhsa_tg_split 0
		.amdhsa_exception_fp_ieee_invalid_op 0
		.amdhsa_exception_fp_denorm_src 0
		.amdhsa_exception_fp_ieee_div_zero 0
		.amdhsa_exception_fp_ieee_overflow 0
		.amdhsa_exception_fp_ieee_underflow 0
		.amdhsa_exception_fp_ieee_inexact 0
		.amdhsa_exception_int_div_zero 0
	.end_amdhsa_kernel
	.section	.text._ZN9rocsolver6v33100L18larfg_kernel_smallILi256E19rocblas_complex_numIdEldPS3_EEvT1_T3_llPT2_llS6_lS5_lPT0_l,"axG",@progbits,_ZN9rocsolver6v33100L18larfg_kernel_smallILi256E19rocblas_complex_numIdEldPS3_EEvT1_T3_llPT2_llS6_lS5_lPT0_l,comdat
.Lfunc_end12:
	.size	_ZN9rocsolver6v33100L18larfg_kernel_smallILi256E19rocblas_complex_numIdEldPS3_EEvT1_T3_llPT2_llS6_lS5_lPT0_l, .Lfunc_end12-_ZN9rocsolver6v33100L18larfg_kernel_smallILi256E19rocblas_complex_numIdEldPS3_EEvT1_T3_llPT2_llS6_lS5_lPT0_l
                                        ; -- End function
	.set _ZN9rocsolver6v33100L18larfg_kernel_smallILi256E19rocblas_complex_numIdEldPS3_EEvT1_T3_llPT2_llS6_lS5_lPT0_l.num_vgpr, 41
	.set _ZN9rocsolver6v33100L18larfg_kernel_smallILi256E19rocblas_complex_numIdEldPS3_EEvT1_T3_llPT2_llS6_lS5_lPT0_l.num_agpr, 0
	.set _ZN9rocsolver6v33100L18larfg_kernel_smallILi256E19rocblas_complex_numIdEldPS3_EEvT1_T3_llPT2_llS6_lS5_lPT0_l.numbered_sgpr, 37
	.set _ZN9rocsolver6v33100L18larfg_kernel_smallILi256E19rocblas_complex_numIdEldPS3_EEvT1_T3_llPT2_llS6_lS5_lPT0_l.num_named_barrier, 0
	.set _ZN9rocsolver6v33100L18larfg_kernel_smallILi256E19rocblas_complex_numIdEldPS3_EEvT1_T3_llPT2_llS6_lS5_lPT0_l.private_seg_size, 0
	.set _ZN9rocsolver6v33100L18larfg_kernel_smallILi256E19rocblas_complex_numIdEldPS3_EEvT1_T3_llPT2_llS6_lS5_lPT0_l.uses_vcc, 1
	.set _ZN9rocsolver6v33100L18larfg_kernel_smallILi256E19rocblas_complex_numIdEldPS3_EEvT1_T3_llPT2_llS6_lS5_lPT0_l.uses_flat_scratch, 0
	.set _ZN9rocsolver6v33100L18larfg_kernel_smallILi256E19rocblas_complex_numIdEldPS3_EEvT1_T3_llPT2_llS6_lS5_lPT0_l.has_dyn_sized_stack, 0
	.set _ZN9rocsolver6v33100L18larfg_kernel_smallILi256E19rocblas_complex_numIdEldPS3_EEvT1_T3_llPT2_llS6_lS5_lPT0_l.has_recursion, 0
	.set _ZN9rocsolver6v33100L18larfg_kernel_smallILi256E19rocblas_complex_numIdEldPS3_EEvT1_T3_llPT2_llS6_lS5_lPT0_l.has_indirect_call, 0
	.section	.AMDGPU.csdata,"",@progbits
; Kernel info:
; codeLenInByte = 1992
; TotalNumSgprs: 43
; NumVgprs: 41
; NumAgprs: 0
; TotalNumVgprs: 41
; ScratchSize: 0
; MemoryBound: 0
; FloatMode: 240
; IeeeMode: 1
; LDSByteSize: 64 bytes/workgroup (compile time only)
; SGPRBlocks: 5
; VGPRBlocks: 5
; NumSGPRsForWavesPerEU: 43
; NumVGPRsForWavesPerEU: 41
; AccumOffset: 44
; Occupancy: 8
; WaveLimiterHint : 0
; COMPUTE_PGM_RSRC2:SCRATCH_EN: 0
; COMPUTE_PGM_RSRC2:USER_SGPR: 2
; COMPUTE_PGM_RSRC2:TRAP_HANDLER: 0
; COMPUTE_PGM_RSRC2:TGID_X_EN: 1
; COMPUTE_PGM_RSRC2:TGID_Y_EN: 0
; COMPUTE_PGM_RSRC2:TGID_Z_EN: 1
; COMPUTE_PGM_RSRC2:TIDIG_COMP_CNT: 0
; COMPUTE_PGM_RSRC3_GFX90A:ACCUM_OFFSET: 10
; COMPUTE_PGM_RSRC3_GFX90A:TG_SPLIT: 0
	.section	.text._ZN9rocsolver6v33100L18larfg_kernel_smallILi512E19rocblas_complex_numIdEldPS3_EEvT1_T3_llPT2_llS6_lS5_lPT0_l,"axG",@progbits,_ZN9rocsolver6v33100L18larfg_kernel_smallILi512E19rocblas_complex_numIdEldPS3_EEvT1_T3_llPT2_llS6_lS5_lPT0_l,comdat
	.globl	_ZN9rocsolver6v33100L18larfg_kernel_smallILi512E19rocblas_complex_numIdEldPS3_EEvT1_T3_llPT2_llS6_lS5_lPT0_l ; -- Begin function _ZN9rocsolver6v33100L18larfg_kernel_smallILi512E19rocblas_complex_numIdEldPS3_EEvT1_T3_llPT2_llS6_lS5_lPT0_l
	.p2align	8
	.type	_ZN9rocsolver6v33100L18larfg_kernel_smallILi512E19rocblas_complex_numIdEldPS3_EEvT1_T3_llPT2_llS6_lS5_lPT0_l,@function
_ZN9rocsolver6v33100L18larfg_kernel_smallILi512E19rocblas_complex_numIdEldPS3_EEvT1_T3_llPT2_llS6_lS5_lPT0_l: ; @_ZN9rocsolver6v33100L18larfg_kernel_smallILi512E19rocblas_complex_numIdEldPS3_EEvT1_T3_llPT2_llS6_lS5_lPT0_l
; %bb.0:
	s_load_dwordx16 s[4:19], s[0:1], 0x0
	s_mov_b64 s[28:29], 0
	s_waitcnt lgkmcnt(0)
	s_cmp_eq_u64 s[12:13], 0
	s_cbranch_scc1 .LBB13_2
; %bb.1:
	s_mul_i32 s2, s17, s3
	s_mul_hi_u32 s17, s16, s3
	s_add_i32 s17, s17, s2
	s_mul_i32 s16, s16, s3
	s_lshl_b64 s[16:17], s[16:17], 3
	s_add_u32 s2, s12, s16
	s_addc_u32 s16, s13, s17
	s_lshl_b64 s[12:13], s[14:15], 3
	s_add_u32 s28, s2, s12
	s_addc_u32 s29, s16, s13
.LBB13_2:
	s_load_dwordx8 s[20:27], s[0:1], 0x40
	s_load_dwordx2 s[30:31], s[0:1], 0x60
	s_add_u32 s12, s4, -1
	v_mov_b32_e32 v1, 0
	s_addc_u32 s13, s5, -1
	v_cmp_gt_i64_e64 s[0:1], s[12:13], v[0:1]
	v_mov_b64_e32 v[2:3], 0
	s_waitcnt lgkmcnt(0)
	s_mul_i32 s33, s25, s3
	s_mul_hi_u32 s36, s24, s3
	s_mul_i32 s14, s24, s3
	v_mov_b64_e32 v[4:5], 0
	s_and_saveexec_b64 s[4:5], s[0:1]
	s_cbranch_execz .LBB13_6
; %bb.3:
	v_mad_u64_u32 v[2:3], s[24:25], s22, v0, 0
	v_mov_b32_e32 v4, v3
	s_add_i32 s15, s36, s33
	v_mad_u64_u32 v[4:5], s[24:25], s23, v0, v[4:5]
	s_lshl_b64 s[16:17], s[14:15], 4
	s_lshl_b64 s[24:25], s[20:21], 4
	s_add_u32 s2, s18, s24
	s_addc_u32 s15, s19, s25
	s_add_u32 s16, s2, s16
	v_mov_b32_e32 v3, v4
	s_addc_u32 s17, s15, s17
	v_lshl_add_u64 v[6:7], v[2:3], 4, s[16:17]
	s_lshl_b64 s[16:17], s[22:23], 13
	v_mov_b64_e32 v[2:3], 0
	s_mov_b64 s[24:25], 0
	s_mov_b64 s[34:35], 0x200
	v_mov_b64_e32 v[8:9], v[0:1]
	v_mov_b64_e32 v[4:5], 0
.LBB13_4:                               ; =>This Inner Loop Header: Depth=1
	global_load_dwordx4 v[10:13], v[6:7], off
	v_lshl_add_u64 v[8:9], v[8:9], 0, s[34:35]
	v_cmp_le_i64_e32 vcc, s[12:13], v[8:9]
	v_lshl_add_u64 v[6:7], v[6:7], 0, s[16:17]
	s_or_b64 s[24:25], vcc, s[24:25]
	s_waitcnt vmcnt(0)
	v_mul_f64 v[14:15], v[12:13], v[12:13]
	v_mul_f64 v[16:17], v[10:11], v[12:13]
	v_fmac_f64_e32 v[14:15], v[10:11], v[10:11]
	v_fma_f64 v[10:11], v[10:11], v[12:13], -v[16:17]
	v_add_f64 v[4:5], v[4:5], v[14:15]
	v_add_f64 v[2:3], v[2:3], v[10:11]
	s_andn2_b64 exec, exec, s[24:25]
	s_cbranch_execnz .LBB13_4
; %bb.5:
	s_or_b64 exec, exec, s[24:25]
.LBB13_6:
	s_or_b64 exec, exec, s[4:5]
	v_mbcnt_lo_u32_b32 v6, -1, 0
	v_mbcnt_hi_u32_b32 v10, -1, v6
	v_and_b32_e32 v11, 63, v10
	v_cmp_ne_u32_e32 vcc, 63, v11
	s_nop 1
	v_addc_co_u32_e32 v6, vcc, 0, v10, vcc
	v_lshlrev_b32_e32 v9, 2, v6
	ds_bpermute_b32 v6, v9, v4
	ds_bpermute_b32 v7, v9, v5
	ds_bpermute_b32 v8, v9, v2
	ds_bpermute_b32 v9, v9, v3
	v_cmp_gt_u32_e32 vcc, 62, v11
	s_waitcnt lgkmcnt(2)
	v_add_f64 v[4:5], v[4:5], v[6:7]
	v_cndmask_b32_e64 v6, 0, 2, vcc
	s_waitcnt lgkmcnt(0)
	v_add_f64 v[2:3], v[2:3], v[8:9]
	v_add_lshl_u32 v9, v6, v10, 2
	ds_bpermute_b32 v6, v9, v4
	ds_bpermute_b32 v7, v9, v5
	ds_bpermute_b32 v8, v9, v2
	ds_bpermute_b32 v9, v9, v3
	v_cmp_gt_u32_e32 vcc, 60, v11
	s_waitcnt lgkmcnt(2)
	v_add_f64 v[4:5], v[4:5], v[6:7]
	v_cndmask_b32_e64 v6, 0, 4, vcc
	s_waitcnt lgkmcnt(0)
	v_add_f64 v[2:3], v[2:3], v[8:9]
	v_add_lshl_u32 v9, v6, v10, 2
	;; [unrolled: 11-line block ×4, first 2 shown]
	ds_bpermute_b32 v6, v9, v4
	ds_bpermute_b32 v7, v9, v5
	;; [unrolled: 1-line block ×4, first 2 shown]
	s_waitcnt lgkmcnt(2)
	v_add_f64 v[4:5], v[4:5], v[6:7]
	s_waitcnt lgkmcnt(0)
	v_add_f64 v[6:7], v[2:3], v[8:9]
	v_mov_b32_e32 v2, 0x80
	v_lshl_or_b32 v9, v10, 2, v2
	ds_bpermute_b32 v2, v9, v4
	ds_bpermute_b32 v3, v9, v5
	;; [unrolled: 1-line block ×4, first 2 shown]
	s_waitcnt lgkmcnt(2)
	v_add_f64 v[2:3], v[4:5], v[2:3]
	s_waitcnt lgkmcnt(0)
	v_add_f64 v[4:5], v[6:7], v[8:9]
	v_and_b32_e32 v6, 63, v0
	v_cmp_eq_u32_e32 vcc, 0, v6
	s_and_saveexec_b64 s[4:5], vcc
; %bb.7:
	v_lshrrev_b32_e32 v6, 2, v0
	ds_write_b128 v6, v[2:5]
; %bb.8:
	s_or_b64 exec, exec, s[4:5]
	v_cmp_eq_u32_e32 vcc, 0, v0
	s_waitcnt lgkmcnt(0)
	s_barrier
	s_and_saveexec_b64 s[4:5], vcc
	s_cbranch_execz .LBB13_10
; %bb.9:
	v_mov_b32_e32 v22, 0
	ds_read_b128 v[6:9], v22 offset:16
	ds_read_b128 v[10:13], v22 offset:32
	;; [unrolled: 1-line block ×4, first 2 shown]
	s_waitcnt lgkmcnt(3)
	v_add_f64 v[2:3], v[2:3], v[6:7]
	v_add_f64 v[4:5], v[4:5], v[8:9]
	s_waitcnt lgkmcnt(2)
	v_add_f64 v[2:3], v[2:3], v[10:11]
	v_add_f64 v[4:5], v[4:5], v[12:13]
	;; [unrolled: 3-line block ×3, first 2 shown]
	ds_read_b128 v[2:5], v22 offset:80
	s_waitcnt lgkmcnt(1)
	v_add_f64 v[14:15], v[6:7], v[18:19]
	ds_read_b128 v[6:9], v22 offset:96
	v_add_f64 v[16:17], v[10:11], v[20:21]
	ds_read_b128 v[10:13], v22 offset:112
	s_waitcnt lgkmcnt(2)
	v_add_f64 v[2:3], v[14:15], v[2:3]
	v_add_f64 v[4:5], v[16:17], v[4:5]
	s_waitcnt lgkmcnt(1)
	v_add_f64 v[2:3], v[2:3], v[6:7]
	v_add_f64 v[4:5], v[4:5], v[8:9]
	;; [unrolled: 3-line block ×3, first 2 shown]
	ds_write_b128 v22, v[2:5]
.LBB13_10:
	s_or_b64 exec, exec, s[4:5]
	s_waitcnt lgkmcnt(0)
	s_barrier
	s_and_saveexec_b64 s[16:17], vcc
	s_cbranch_execz .LBB13_20
; %bb.11:
	s_mul_i32 s2, s11, s3
	s_mul_hi_u32 s4, s10, s3
	s_add_i32 s5, s4, s2
	s_mul_i32 s4, s10, s3
	s_lshl_b64 s[4:5], s[4:5], 4
	s_add_u32 s2, s6, s4
	s_addc_u32 s6, s7, s5
	s_lshl_b64 s[4:5], s[8:9], 4
	s_add_u32 s8, s2, s4
	s_addc_u32 s9, s6, s5
	v_mov_b32_e32 v2, 0
	s_load_dwordx2 s[10:11], s[8:9], 0x8
	ds_read_b64 v[8:9], v2
	s_mul_i32 s2, s31, s3
	s_mul_hi_u32 s4, s30, s3
	s_add_i32 s5, s4, s2
	s_mul_i32 s4, s30, s3
	s_lshl_b64 s[2:3], s[4:5], 4
	s_add_u32 s24, s26, s2
	s_addc_u32 s25, s27, s3
	s_waitcnt lgkmcnt(0)
	v_mul_f64 v[6:7], s[10:11], s[10:11]
	v_max_f64 v[4:5], v[8:9], v[8:9]
	s_cmp_eq_u64 s[28:29], 0
	v_max_f64 v[4:5], v[4:5], v[6:7]
	s_cselect_b64 s[2:3], -1, 0
	s_cmp_lg_u64 s[28:29], 0
	v_cmp_nlt_f64_e32 vcc, 0, v[4:5]
	s_mov_b64 s[30:31], 0
	s_cselect_b64 s[26:27], -1, 0
	s_cbranch_vccz .LBB13_14
; %bb.12:
	v_mov_b32_e32 v3, 0x3ff00000
	v_mov_b32_e32 v4, v2
	;; [unrolled: 1-line block ×3, first 2 shown]
	ds_write_b128 v2, v[2:5]
	v_mov_b32_e32 v3, v2
	s_mov_b64 s[6:7], 0
	s_and_b64 vcc, exec, s[26:27]
	global_store_dwordx4 v2, v[2:5], s[24:25]
                                        ; implicit-def: $vgpr4_vgpr5
	s_cbranch_vccz .LBB13_15
; %bb.13:
	s_nop 0
	v_mov_b32_e32 v2, 0
	global_load_dwordx2 v[2:3], v2, s[8:9]
	s_mov_b64 s[4:5], -1
	s_and_b64 vcc, exec, s[6:7]
	s_cbranch_vccnz .LBB13_16
	s_branch .LBB13_17
.LBB13_14:
	s_mov_b64 s[6:7], -1
.LBB13_15:
	s_mov_b64 s[4:5], 0
                                        ; implicit-def: $vgpr2_vgpr3
	s_and_b64 vcc, exec, s[6:7]
	s_cbranch_vccz .LBB13_17
.LBB13_16:
	v_mov_b32_e32 v40, 0
	global_load_dwordx2 v[4:5], v40, s[8:9]
	s_mov_b32 s4, 0
	s_brev_b32 s5, 8
	v_mov_b32_e32 v14, 0x260
	s_mov_b64 s[30:31], s[2:3]
	s_waitcnt vmcnt(0)
	v_fma_f64 v[2:3], v[4:5], v[4:5], v[6:7]
	v_add_f64 v[2:3], v[8:9], v[2:3]
	v_cmp_gt_f64_e32 vcc, s[4:5], v[2:3]
	s_and_b64 s[4:5], vcc, exec
	s_cselect_b32 s4, 0x100, 0
	v_ldexp_f64 v[2:3], v[2:3], s4
	v_rsq_f64_e32 v[8:9], v[2:3]
	s_cselect_b32 s2, 0xffffff80, 0
	v_cmp_class_f64_e32 vcc, v[2:3], v14
	v_mul_f64 v[10:11], v[2:3], v[8:9]
	v_mul_f64 v[8:9], v[8:9], 0.5
	v_fma_f64 v[12:13], -v[8:9], v[10:11], 0.5
	v_fmac_f64_e32 v[10:11], v[10:11], v[12:13]
	v_fmac_f64_e32 v[8:9], v[8:9], v[12:13]
	v_fma_f64 v[12:13], -v[10:11], v[10:11], v[2:3]
	v_fmac_f64_e32 v[10:11], v[12:13], v[8:9]
	v_fma_f64 v[12:13], -v[10:11], v[10:11], v[2:3]
	v_fmac_f64_e32 v[10:11], v[12:13], v[8:9]
	v_ldexp_f64 v[8:9], v[10:11], s2
	v_cndmask_b32_e32 v3, v9, v3, vcc
	v_cndmask_b32_e32 v2, v8, v2, vcc
	v_xor_b32_e32 v8, 0x80000000, v3
	v_cmp_le_f64_e32 vcc, 0, v[4:5]
	s_nop 1
	v_cndmask_b32_e32 v3, v3, v8, vcc
	v_add_f64 v[8:9], v[4:5], -v[2:3]
	v_add_f64 v[10:11], v[2:3], -v[4:5]
	v_div_scale_f64 v[4:5], s[2:3], v[2:3], v[2:3], -s[10:11]
	v_fmac_f64_e32 v[6:7], v[8:9], v[8:9]
	v_div_scale_f64 v[14:15], s[4:5], v[2:3], v[2:3], v[10:11]
	v_rcp_f64_e32 v[18:19], v[4:5]
	v_div_scale_f64 v[20:21], s[6:7], v[6:7], v[6:7], v[8:9]
	v_div_scale_f64 v[24:25], s[6:7], v[6:7], v[6:7], -s[10:11]
	v_rcp_f64_e32 v[28:29], v[14:15]
	v_rcp_f64_e32 v[30:31], v[20:21]
	;; [unrolled: 1-line block ×3, first 2 shown]
	v_fma_f64 v[34:35], -v[4:5], v[18:19], 1.0
	v_fma_f64 v[36:37], -v[14:15], v[28:29], 1.0
	v_fmac_f64_e32 v[18:19], v[18:19], v[34:35]
	v_fma_f64 v[34:35], -v[20:21], v[30:31], 1.0
	v_fma_f64 v[38:39], -v[24:25], v[32:33], 1.0
	v_fmac_f64_e32 v[28:29], v[28:29], v[36:37]
	v_fma_f64 v[36:37], -v[4:5], v[18:19], 1.0
	v_fmac_f64_e32 v[30:31], v[30:31], v[34:35]
	v_div_scale_f64 v[12:13], s[2:3], -s[10:11], v[2:3], -s[10:11]
	v_fmac_f64_e32 v[32:33], v[32:33], v[38:39]
	v_fma_f64 v[34:35], -v[14:15], v[28:29], 1.0
	v_fmac_f64_e32 v[18:19], v[18:19], v[36:37]
	v_fma_f64 v[36:37], -v[20:21], v[30:31], 1.0
	v_div_scale_f64 v[16:17], s[4:5], v[10:11], v[2:3], v[10:11]
	v_div_scale_f64 v[22:23], vcc, v[8:9], v[6:7], v[8:9]
	v_fma_f64 v[38:39], -v[24:25], v[32:33], 1.0
	v_fmac_f64_e32 v[28:29], v[28:29], v[34:35]
	v_mul_f64 v[34:35], v[12:13], v[18:19]
	v_fmac_f64_e32 v[30:31], v[30:31], v[36:37]
	v_div_scale_f64 v[26:27], s[6:7], -s[10:11], v[6:7], -s[10:11]
	v_fmac_f64_e32 v[32:33], v[32:33], v[38:39]
	v_mul_f64 v[36:37], v[16:17], v[28:29]
	v_fma_f64 v[12:13], -v[4:5], v[34:35], v[12:13]
	v_mul_f64 v[4:5], v[22:23], v[30:31]
	v_mul_f64 v[38:39], v[26:27], v[32:33]
	v_fma_f64 v[14:15], -v[14:15], v[36:37], v[16:17]
	v_fma_f64 v[16:17], -v[20:21], v[4:5], v[22:23]
	;; [unrolled: 1-line block ×3, first 2 shown]
	v_div_fmas_f64 v[4:5], v[16:17], v[30:31], v[4:5]
	s_mov_b64 vcc, s[6:7]
	v_div_fixup_f64 v[4:5], v[4:5], v[6:7], v[8:9]
	v_div_fmas_f64 v[8:9], v[20:21], v[32:33], v[38:39]
	s_mov_b64 vcc, s[4:5]
	v_div_fixup_f64 v[6:7], v[8:9], v[6:7], -s[10:11]
	v_div_fmas_f64 v[8:9], v[14:15], v[28:29], v[36:37]
	s_mov_b64 vcc, s[2:3]
	ds_write_b128 v40, v[4:7]
	v_div_fmas_f64 v[6:7], v[12:13], v[18:19], v[34:35]
	v_div_fixup_f64 v[4:5], v[8:9], v[2:3], v[10:11]
	v_div_fixup_f64 v[6:7], v[6:7], v[2:3], -s[10:11]
	s_mov_b64 s[4:5], s[26:27]
	global_store_dwordx4 v40, v[4:7], s[24:25]
.LBB13_17:
	s_andn2_b64 vcc, exec, s[4:5]
	s_cbranch_vccz .LBB13_24
; %bb.18:
	s_andn2_b64 vcc, exec, s[30:31]
	s_cbranch_vccnz .LBB13_20
.LBB13_19:
	v_mov_b32_e32 v4, 0
	v_mov_b32_e32 v5, v4
	s_waitcnt vmcnt(0)
	global_store_dwordx4 v4, v[2:5], s[8:9]
.LBB13_20:
	s_or_b64 exec, exec, s[16:17]
	s_waitcnt lgkmcnt(0)
	s_barrier
	s_and_saveexec_b64 s[2:3], s[0:1]
	s_cbranch_execz .LBB13_23
; %bb.21:
	v_mad_u64_u32 v[6:7], s[2:3], s22, v0, 0
	v_mov_b32_e32 v8, v7
	s_add_i32 s15, s36, s33
	v_mad_u64_u32 v[8:9], s[2:3], s23, v0, v[8:9]
	s_lshl_b64 s[0:1], s[14:15], 4
	s_lshl_b64 s[2:3], s[20:21], 4
	s_waitcnt vmcnt(0)
	v_mov_b32_e32 v2, 0
	s_add_u32 s2, s18, s2
	ds_read_b128 v[2:5], v2
	s_addc_u32 s3, s19, s3
	s_add_u32 s0, s2, s0
	v_mov_b32_e32 v7, v8
	s_addc_u32 s1, s3, s1
	v_lshl_add_u64 v[6:7], v[6:7], 4, s[0:1]
	v_lshl_add_u64 v[6:7], v[6:7], 0, 8
	s_lshl_b64 s[0:1], s[22:23], 13
	s_mov_b64 s[2:3], 0
	s_mov_b64 s[4:5], 0x200
.LBB13_22:                              ; =>This Inner Loop Header: Depth=1
	global_load_dwordx4 v[8:11], v[6:7], off offset:-8
	v_lshl_add_u64 v[0:1], v[0:1], 0, s[4:5]
	v_cmp_le_i64_e32 vcc, s[12:13], v[0:1]
	s_or_b64 s[2:3], vcc, s[2:3]
	s_waitcnt vmcnt(0) lgkmcnt(0)
	v_mul_f64 v[14:15], v[4:5], v[10:11]
	v_mul_f64 v[12:13], v[2:3], v[10:11]
	v_fma_f64 v[10:11], v[2:3], v[8:9], -v[14:15]
	v_fmac_f64_e32 v[12:13], v[4:5], v[8:9]
	global_store_dwordx4 v[6:7], v[10:13], off offset:-8
	v_lshl_add_u64 v[6:7], v[6:7], 0, s[0:1]
	s_andn2_b64 exec, exec, s[2:3]
	s_cbranch_execnz .LBB13_22
.LBB13_23:
	s_endpgm
.LBB13_24:
	v_mov_b32_e32 v4, 0
	s_waitcnt vmcnt(0)
	global_store_dwordx2 v4, v[2:3], s[28:29]
	v_mov_b64_e32 v[2:3], 1.0
	s_branch .LBB13_19
	.section	.rodata,"a",@progbits
	.p2align	6, 0x0
	.amdhsa_kernel _ZN9rocsolver6v33100L18larfg_kernel_smallILi512E19rocblas_complex_numIdEldPS3_EEvT1_T3_llPT2_llS6_lS5_lPT0_l
		.amdhsa_group_segment_fixed_size 128
		.amdhsa_private_segment_fixed_size 0
		.amdhsa_kernarg_size 104
		.amdhsa_user_sgpr_count 2
		.amdhsa_user_sgpr_dispatch_ptr 0
		.amdhsa_user_sgpr_queue_ptr 0
		.amdhsa_user_sgpr_kernarg_segment_ptr 1
		.amdhsa_user_sgpr_dispatch_id 0
		.amdhsa_user_sgpr_kernarg_preload_length 0
		.amdhsa_user_sgpr_kernarg_preload_offset 0
		.amdhsa_user_sgpr_private_segment_size 0
		.amdhsa_uses_dynamic_stack 0
		.amdhsa_enable_private_segment 0
		.amdhsa_system_sgpr_workgroup_id_x 1
		.amdhsa_system_sgpr_workgroup_id_y 0
		.amdhsa_system_sgpr_workgroup_id_z 1
		.amdhsa_system_sgpr_workgroup_info 0
		.amdhsa_system_vgpr_workitem_id 0
		.amdhsa_next_free_vgpr 41
		.amdhsa_next_free_sgpr 37
		.amdhsa_accum_offset 44
		.amdhsa_reserve_vcc 1
		.amdhsa_float_round_mode_32 0
		.amdhsa_float_round_mode_16_64 0
		.amdhsa_float_denorm_mode_32 3
		.amdhsa_float_denorm_mode_16_64 3
		.amdhsa_dx10_clamp 1
		.amdhsa_ieee_mode 1
		.amdhsa_fp16_overflow 0
		.amdhsa_tg_split 0
		.amdhsa_exception_fp_ieee_invalid_op 0
		.amdhsa_exception_fp_denorm_src 0
		.amdhsa_exception_fp_ieee_div_zero 0
		.amdhsa_exception_fp_ieee_overflow 0
		.amdhsa_exception_fp_ieee_underflow 0
		.amdhsa_exception_fp_ieee_inexact 0
		.amdhsa_exception_int_div_zero 0
	.end_amdhsa_kernel
	.section	.text._ZN9rocsolver6v33100L18larfg_kernel_smallILi512E19rocblas_complex_numIdEldPS3_EEvT1_T3_llPT2_llS6_lS5_lPT0_l,"axG",@progbits,_ZN9rocsolver6v33100L18larfg_kernel_smallILi512E19rocblas_complex_numIdEldPS3_EEvT1_T3_llPT2_llS6_lS5_lPT0_l,comdat
.Lfunc_end13:
	.size	_ZN9rocsolver6v33100L18larfg_kernel_smallILi512E19rocblas_complex_numIdEldPS3_EEvT1_T3_llPT2_llS6_lS5_lPT0_l, .Lfunc_end13-_ZN9rocsolver6v33100L18larfg_kernel_smallILi512E19rocblas_complex_numIdEldPS3_EEvT1_T3_llPT2_llS6_lS5_lPT0_l
                                        ; -- End function
	.set _ZN9rocsolver6v33100L18larfg_kernel_smallILi512E19rocblas_complex_numIdEldPS3_EEvT1_T3_llPT2_llS6_lS5_lPT0_l.num_vgpr, 41
	.set _ZN9rocsolver6v33100L18larfg_kernel_smallILi512E19rocblas_complex_numIdEldPS3_EEvT1_T3_llPT2_llS6_lS5_lPT0_l.num_agpr, 0
	.set _ZN9rocsolver6v33100L18larfg_kernel_smallILi512E19rocblas_complex_numIdEldPS3_EEvT1_T3_llPT2_llS6_lS5_lPT0_l.numbered_sgpr, 37
	.set _ZN9rocsolver6v33100L18larfg_kernel_smallILi512E19rocblas_complex_numIdEldPS3_EEvT1_T3_llPT2_llS6_lS5_lPT0_l.num_named_barrier, 0
	.set _ZN9rocsolver6v33100L18larfg_kernel_smallILi512E19rocblas_complex_numIdEldPS3_EEvT1_T3_llPT2_llS6_lS5_lPT0_l.private_seg_size, 0
	.set _ZN9rocsolver6v33100L18larfg_kernel_smallILi512E19rocblas_complex_numIdEldPS3_EEvT1_T3_llPT2_llS6_lS5_lPT0_l.uses_vcc, 1
	.set _ZN9rocsolver6v33100L18larfg_kernel_smallILi512E19rocblas_complex_numIdEldPS3_EEvT1_T3_llPT2_llS6_lS5_lPT0_l.uses_flat_scratch, 0
	.set _ZN9rocsolver6v33100L18larfg_kernel_smallILi512E19rocblas_complex_numIdEldPS3_EEvT1_T3_llPT2_llS6_lS5_lPT0_l.has_dyn_sized_stack, 0
	.set _ZN9rocsolver6v33100L18larfg_kernel_smallILi512E19rocblas_complex_numIdEldPS3_EEvT1_T3_llPT2_llS6_lS5_lPT0_l.has_recursion, 0
	.set _ZN9rocsolver6v33100L18larfg_kernel_smallILi512E19rocblas_complex_numIdEldPS3_EEvT1_T3_llPT2_llS6_lS5_lPT0_l.has_indirect_call, 0
	.section	.AMDGPU.csdata,"",@progbits
; Kernel info:
; codeLenInByte = 2104
; TotalNumSgprs: 43
; NumVgprs: 41
; NumAgprs: 0
; TotalNumVgprs: 41
; ScratchSize: 0
; MemoryBound: 0
; FloatMode: 240
; IeeeMode: 1
; LDSByteSize: 128 bytes/workgroup (compile time only)
; SGPRBlocks: 5
; VGPRBlocks: 5
; NumSGPRsForWavesPerEU: 43
; NumVGPRsForWavesPerEU: 41
; AccumOffset: 44
; Occupancy: 8
; WaveLimiterHint : 0
; COMPUTE_PGM_RSRC2:SCRATCH_EN: 0
; COMPUTE_PGM_RSRC2:USER_SGPR: 2
; COMPUTE_PGM_RSRC2:TRAP_HANDLER: 0
; COMPUTE_PGM_RSRC2:TGID_X_EN: 1
; COMPUTE_PGM_RSRC2:TGID_Y_EN: 0
; COMPUTE_PGM_RSRC2:TGID_Z_EN: 1
; COMPUTE_PGM_RSRC2:TIDIG_COMP_CNT: 0
; COMPUTE_PGM_RSRC3_GFX90A:ACCUM_OFFSET: 10
; COMPUTE_PGM_RSRC3_GFX90A:TG_SPLIT: 0
	.section	.text._ZN9rocsolver6v33100L18larfg_kernel_smallILi1024E19rocblas_complex_numIdEldPS3_EEvT1_T3_llPT2_llS6_lS5_lPT0_l,"axG",@progbits,_ZN9rocsolver6v33100L18larfg_kernel_smallILi1024E19rocblas_complex_numIdEldPS3_EEvT1_T3_llPT2_llS6_lS5_lPT0_l,comdat
	.globl	_ZN9rocsolver6v33100L18larfg_kernel_smallILi1024E19rocblas_complex_numIdEldPS3_EEvT1_T3_llPT2_llS6_lS5_lPT0_l ; -- Begin function _ZN9rocsolver6v33100L18larfg_kernel_smallILi1024E19rocblas_complex_numIdEldPS3_EEvT1_T3_llPT2_llS6_lS5_lPT0_l
	.p2align	8
	.type	_ZN9rocsolver6v33100L18larfg_kernel_smallILi1024E19rocblas_complex_numIdEldPS3_EEvT1_T3_llPT2_llS6_lS5_lPT0_l,@function
_ZN9rocsolver6v33100L18larfg_kernel_smallILi1024E19rocblas_complex_numIdEldPS3_EEvT1_T3_llPT2_llS6_lS5_lPT0_l: ; @_ZN9rocsolver6v33100L18larfg_kernel_smallILi1024E19rocblas_complex_numIdEldPS3_EEvT1_T3_llPT2_llS6_lS5_lPT0_l
; %bb.0:
	s_load_dwordx16 s[4:19], s[0:1], 0x0
	s_mov_b64 s[28:29], 0
	s_waitcnt lgkmcnt(0)
	s_cmp_eq_u64 s[12:13], 0
	s_cbranch_scc1 .LBB14_2
; %bb.1:
	s_mul_i32 s2, s17, s3
	s_mul_hi_u32 s17, s16, s3
	s_add_i32 s17, s17, s2
	s_mul_i32 s16, s16, s3
	s_lshl_b64 s[16:17], s[16:17], 3
	s_add_u32 s2, s12, s16
	s_addc_u32 s16, s13, s17
	s_lshl_b64 s[12:13], s[14:15], 3
	s_add_u32 s28, s2, s12
	s_addc_u32 s29, s16, s13
.LBB14_2:
	s_load_dwordx8 s[20:27], s[0:1], 0x40
	s_load_dwordx2 s[16:17], s[0:1], 0x60
	s_add_u32 s12, s4, -1
	v_mov_b32_e32 v1, 0
	s_addc_u32 s13, s5, -1
	v_cmp_gt_i64_e64 s[0:1], s[12:13], v[0:1]
	v_mov_b64_e32 v[2:3], 0
	s_waitcnt lgkmcnt(0)
	s_mul_i32 s33, s25, s3
	s_mul_hi_u32 s36, s24, s3
	s_mul_i32 s14, s24, s3
	v_mov_b64_e32 v[4:5], 0
	s_and_saveexec_b64 s[4:5], s[0:1]
	s_cbranch_execz .LBB14_6
; %bb.3:
	v_mad_u64_u32 v[2:3], s[30:31], s22, v0, 0
	v_mov_b32_e32 v4, v3
	s_add_i32 s15, s36, s33
	v_mad_u64_u32 v[4:5], s[30:31], s23, v0, v[4:5]
	s_lshl_b64 s[24:25], s[14:15], 4
	s_lshl_b64 s[30:31], s[20:21], 4
	s_add_u32 s2, s18, s30
	s_addc_u32 s15, s19, s31
	s_add_u32 s24, s2, s24
	v_mov_b32_e32 v3, v4
	s_addc_u32 s25, s15, s25
	v_lshl_add_u64 v[6:7], v[2:3], 4, s[24:25]
	s_lshl_b64 s[24:25], s[22:23], 14
	v_mov_b64_e32 v[2:3], 0
	s_mov_b64 s[30:31], 0
	s_mov_b64 s[34:35], 0x400
	v_mov_b64_e32 v[8:9], v[0:1]
	v_mov_b64_e32 v[4:5], 0
.LBB14_4:                               ; =>This Inner Loop Header: Depth=1
	global_load_dwordx4 v[10:13], v[6:7], off
	v_lshl_add_u64 v[8:9], v[8:9], 0, s[34:35]
	v_cmp_le_i64_e32 vcc, s[12:13], v[8:9]
	v_lshl_add_u64 v[6:7], v[6:7], 0, s[24:25]
	s_or_b64 s[30:31], vcc, s[30:31]
	s_waitcnt vmcnt(0)
	v_mul_f64 v[14:15], v[12:13], v[12:13]
	v_mul_f64 v[16:17], v[10:11], v[12:13]
	v_fmac_f64_e32 v[14:15], v[10:11], v[10:11]
	v_fma_f64 v[10:11], v[10:11], v[12:13], -v[16:17]
	v_add_f64 v[4:5], v[4:5], v[14:15]
	v_add_f64 v[2:3], v[2:3], v[10:11]
	s_andn2_b64 exec, exec, s[30:31]
	s_cbranch_execnz .LBB14_4
; %bb.5:
	s_or_b64 exec, exec, s[30:31]
.LBB14_6:
	s_or_b64 exec, exec, s[4:5]
	v_mbcnt_lo_u32_b32 v6, -1, 0
	v_mbcnt_hi_u32_b32 v10, -1, v6
	v_and_b32_e32 v11, 63, v10
	v_cmp_ne_u32_e32 vcc, 63, v11
	s_nop 1
	v_addc_co_u32_e32 v6, vcc, 0, v10, vcc
	v_lshlrev_b32_e32 v9, 2, v6
	ds_bpermute_b32 v6, v9, v4
	ds_bpermute_b32 v7, v9, v5
	ds_bpermute_b32 v8, v9, v2
	ds_bpermute_b32 v9, v9, v3
	v_cmp_gt_u32_e32 vcc, 62, v11
	s_waitcnt lgkmcnt(2)
	v_add_f64 v[4:5], v[4:5], v[6:7]
	v_cndmask_b32_e64 v6, 0, 2, vcc
	s_waitcnt lgkmcnt(0)
	v_add_f64 v[2:3], v[2:3], v[8:9]
	v_add_lshl_u32 v9, v6, v10, 2
	ds_bpermute_b32 v6, v9, v4
	ds_bpermute_b32 v7, v9, v5
	ds_bpermute_b32 v8, v9, v2
	ds_bpermute_b32 v9, v9, v3
	v_cmp_gt_u32_e32 vcc, 60, v11
	s_waitcnt lgkmcnt(2)
	v_add_f64 v[4:5], v[4:5], v[6:7]
	v_cndmask_b32_e64 v6, 0, 4, vcc
	s_waitcnt lgkmcnt(0)
	v_add_f64 v[2:3], v[2:3], v[8:9]
	v_add_lshl_u32 v9, v6, v10, 2
	;; [unrolled: 11-line block ×4, first 2 shown]
	ds_bpermute_b32 v6, v9, v4
	ds_bpermute_b32 v7, v9, v5
	;; [unrolled: 1-line block ×4, first 2 shown]
	s_waitcnt lgkmcnt(2)
	v_add_f64 v[4:5], v[4:5], v[6:7]
	s_waitcnt lgkmcnt(0)
	v_add_f64 v[6:7], v[2:3], v[8:9]
	v_mov_b32_e32 v2, 0x80
	v_lshl_or_b32 v9, v10, 2, v2
	ds_bpermute_b32 v2, v9, v4
	ds_bpermute_b32 v3, v9, v5
	;; [unrolled: 1-line block ×4, first 2 shown]
	s_waitcnt lgkmcnt(2)
	v_add_f64 v[2:3], v[4:5], v[2:3]
	s_waitcnt lgkmcnt(0)
	v_add_f64 v[4:5], v[6:7], v[8:9]
	v_and_b32_e32 v6, 63, v0
	v_cmp_eq_u32_e32 vcc, 0, v6
	s_and_saveexec_b64 s[4:5], vcc
; %bb.7:
	v_lshrrev_b32_e32 v6, 2, v0
	ds_write_b128 v6, v[2:5]
; %bb.8:
	s_or_b64 exec, exec, s[4:5]
	v_cmp_eq_u32_e32 vcc, 0, v0
	s_waitcnt lgkmcnt(0)
	s_barrier
	s_and_saveexec_b64 s[4:5], vcc
	s_cbranch_execz .LBB14_10
; %bb.9:
	v_mov_b32_e32 v22, 0
	ds_read_b128 v[6:9], v22 offset:16
	ds_read_b128 v[10:13], v22 offset:32
	;; [unrolled: 1-line block ×4, first 2 shown]
	s_waitcnt lgkmcnt(3)
	v_add_f64 v[2:3], v[2:3], v[6:7]
	v_add_f64 v[4:5], v[4:5], v[8:9]
	s_waitcnt lgkmcnt(2)
	v_add_f64 v[2:3], v[2:3], v[10:11]
	v_add_f64 v[6:7], v[4:5], v[12:13]
	s_waitcnt lgkmcnt(1)
	v_add_f64 v[8:9], v[2:3], v[14:15]
	ds_read_b128 v[2:5], v22 offset:80
	v_add_f64 v[10:11], v[6:7], v[16:17]
	s_waitcnt lgkmcnt(1)
	v_add_f64 v[12:13], v[8:9], v[18:19]
	ds_read_b128 v[6:9], v22 offset:96
	;; [unrolled: 4-line block ×8, first 2 shown]
	v_add_f64 v[12:13], v[14:15], v[12:13]
	s_waitcnt lgkmcnt(1)
	v_add_f64 v[10:11], v[10:11], v[2:3]
	v_add_f64 v[14:15], v[12:13], v[4:5]
	ds_read_b128 v[2:5], v22 offset:208
	s_waitcnt lgkmcnt(1)
	v_add_f64 v[16:17], v[10:11], v[6:7]
	ds_read_b128 v[10:13], v22 offset:224
	v_add_f64 v[14:15], v[14:15], v[8:9]
	ds_read_b128 v[6:9], v22 offset:240
	s_waitcnt lgkmcnt(2)
	v_add_f64 v[2:3], v[16:17], v[2:3]
	v_add_f64 v[4:5], v[14:15], v[4:5]
	s_waitcnt lgkmcnt(1)
	v_add_f64 v[2:3], v[2:3], v[10:11]
	v_add_f64 v[4:5], v[4:5], v[12:13]
	;; [unrolled: 3-line block ×3, first 2 shown]
	ds_write_b128 v22, v[2:5]
.LBB14_10:
	s_or_b64 exec, exec, s[4:5]
	s_waitcnt lgkmcnt(0)
	s_barrier
	s_and_saveexec_b64 s[24:25], vcc
	s_cbranch_execz .LBB14_20
; %bb.11:
	s_mul_i32 s2, s11, s3
	s_mul_hi_u32 s4, s10, s3
	s_add_i32 s5, s4, s2
	s_mul_i32 s4, s10, s3
	s_lshl_b64 s[4:5], s[4:5], 4
	s_add_u32 s2, s6, s4
	s_addc_u32 s6, s7, s5
	s_lshl_b64 s[4:5], s[8:9], 4
	s_add_u32 s8, s2, s4
	s_addc_u32 s9, s6, s5
	v_mov_b32_e32 v2, 0
	s_load_dwordx2 s[10:11], s[8:9], 0x8
	ds_read_b64 v[8:9], v2
	s_mul_i32 s2, s17, s3
	s_mul_hi_u32 s4, s16, s3
	s_add_i32 s5, s4, s2
	s_mul_i32 s4, s16, s3
	s_lshl_b64 s[2:3], s[4:5], 4
	s_add_u32 s16, s26, s2
	s_addc_u32 s17, s27, s3
	s_waitcnt lgkmcnt(0)
	v_mul_f64 v[6:7], s[10:11], s[10:11]
	v_max_f64 v[4:5], v[8:9], v[8:9]
	s_cmp_eq_u64 s[28:29], 0
	v_max_f64 v[4:5], v[4:5], v[6:7]
	s_cselect_b64 s[2:3], -1, 0
	s_cmp_lg_u64 s[28:29], 0
	v_cmp_nlt_f64_e32 vcc, 0, v[4:5]
	s_mov_b64 s[30:31], 0
	s_cselect_b64 s[26:27], -1, 0
	s_cbranch_vccz .LBB14_14
; %bb.12:
	v_mov_b32_e32 v3, 0x3ff00000
	v_mov_b32_e32 v4, v2
	;; [unrolled: 1-line block ×3, first 2 shown]
	ds_write_b128 v2, v[2:5]
	v_mov_b32_e32 v3, v2
	s_mov_b64 s[6:7], 0
	s_and_b64 vcc, exec, s[26:27]
	global_store_dwordx4 v2, v[2:5], s[16:17]
                                        ; implicit-def: $vgpr4_vgpr5
	s_cbranch_vccz .LBB14_15
; %bb.13:
	s_nop 0
	v_mov_b32_e32 v2, 0
	global_load_dwordx2 v[2:3], v2, s[8:9]
	s_mov_b64 s[4:5], -1
	s_and_b64 vcc, exec, s[6:7]
	s_cbranch_vccnz .LBB14_16
	s_branch .LBB14_17
.LBB14_14:
	s_mov_b64 s[6:7], -1
.LBB14_15:
	s_mov_b64 s[4:5], 0
                                        ; implicit-def: $vgpr2_vgpr3
	s_and_b64 vcc, exec, s[6:7]
	s_cbranch_vccz .LBB14_17
.LBB14_16:
	v_mov_b32_e32 v40, 0
	global_load_dwordx2 v[4:5], v40, s[8:9]
	s_mov_b32 s4, 0
	s_brev_b32 s5, 8
	v_mov_b32_e32 v14, 0x260
	s_mov_b64 s[30:31], s[2:3]
	s_waitcnt vmcnt(0)
	v_fma_f64 v[2:3], v[4:5], v[4:5], v[6:7]
	v_add_f64 v[2:3], v[8:9], v[2:3]
	v_cmp_gt_f64_e32 vcc, s[4:5], v[2:3]
	s_and_b64 s[4:5], vcc, exec
	s_cselect_b32 s4, 0x100, 0
	v_ldexp_f64 v[2:3], v[2:3], s4
	v_rsq_f64_e32 v[8:9], v[2:3]
	s_cselect_b32 s2, 0xffffff80, 0
	v_cmp_class_f64_e32 vcc, v[2:3], v14
	v_mul_f64 v[10:11], v[2:3], v[8:9]
	v_mul_f64 v[8:9], v[8:9], 0.5
	v_fma_f64 v[12:13], -v[8:9], v[10:11], 0.5
	v_fmac_f64_e32 v[10:11], v[10:11], v[12:13]
	v_fmac_f64_e32 v[8:9], v[8:9], v[12:13]
	v_fma_f64 v[12:13], -v[10:11], v[10:11], v[2:3]
	v_fmac_f64_e32 v[10:11], v[12:13], v[8:9]
	v_fma_f64 v[12:13], -v[10:11], v[10:11], v[2:3]
	v_fmac_f64_e32 v[10:11], v[12:13], v[8:9]
	v_ldexp_f64 v[8:9], v[10:11], s2
	v_cndmask_b32_e32 v3, v9, v3, vcc
	v_cndmask_b32_e32 v2, v8, v2, vcc
	v_xor_b32_e32 v8, 0x80000000, v3
	v_cmp_le_f64_e32 vcc, 0, v[4:5]
	s_nop 1
	v_cndmask_b32_e32 v3, v3, v8, vcc
	v_add_f64 v[8:9], v[4:5], -v[2:3]
	v_add_f64 v[10:11], v[2:3], -v[4:5]
	v_div_scale_f64 v[4:5], s[2:3], v[2:3], v[2:3], -s[10:11]
	v_fmac_f64_e32 v[6:7], v[8:9], v[8:9]
	v_div_scale_f64 v[14:15], s[4:5], v[2:3], v[2:3], v[10:11]
	v_rcp_f64_e32 v[18:19], v[4:5]
	v_div_scale_f64 v[20:21], s[6:7], v[6:7], v[6:7], v[8:9]
	v_div_scale_f64 v[24:25], s[6:7], v[6:7], v[6:7], -s[10:11]
	v_rcp_f64_e32 v[28:29], v[14:15]
	v_rcp_f64_e32 v[30:31], v[20:21]
	;; [unrolled: 1-line block ×3, first 2 shown]
	v_fma_f64 v[34:35], -v[4:5], v[18:19], 1.0
	v_fma_f64 v[36:37], -v[14:15], v[28:29], 1.0
	v_fmac_f64_e32 v[18:19], v[18:19], v[34:35]
	v_fma_f64 v[34:35], -v[20:21], v[30:31], 1.0
	v_fma_f64 v[38:39], -v[24:25], v[32:33], 1.0
	v_fmac_f64_e32 v[28:29], v[28:29], v[36:37]
	v_fma_f64 v[36:37], -v[4:5], v[18:19], 1.0
	v_fmac_f64_e32 v[30:31], v[30:31], v[34:35]
	v_div_scale_f64 v[12:13], s[2:3], -s[10:11], v[2:3], -s[10:11]
	v_fmac_f64_e32 v[32:33], v[32:33], v[38:39]
	v_fma_f64 v[34:35], -v[14:15], v[28:29], 1.0
	v_fmac_f64_e32 v[18:19], v[18:19], v[36:37]
	v_fma_f64 v[36:37], -v[20:21], v[30:31], 1.0
	v_div_scale_f64 v[16:17], s[4:5], v[10:11], v[2:3], v[10:11]
	v_div_scale_f64 v[22:23], vcc, v[8:9], v[6:7], v[8:9]
	v_fma_f64 v[38:39], -v[24:25], v[32:33], 1.0
	v_fmac_f64_e32 v[28:29], v[28:29], v[34:35]
	v_mul_f64 v[34:35], v[12:13], v[18:19]
	v_fmac_f64_e32 v[30:31], v[30:31], v[36:37]
	v_div_scale_f64 v[26:27], s[6:7], -s[10:11], v[6:7], -s[10:11]
	v_fmac_f64_e32 v[32:33], v[32:33], v[38:39]
	v_mul_f64 v[36:37], v[16:17], v[28:29]
	v_fma_f64 v[12:13], -v[4:5], v[34:35], v[12:13]
	v_mul_f64 v[4:5], v[22:23], v[30:31]
	v_mul_f64 v[38:39], v[26:27], v[32:33]
	v_fma_f64 v[14:15], -v[14:15], v[36:37], v[16:17]
	v_fma_f64 v[16:17], -v[20:21], v[4:5], v[22:23]
	;; [unrolled: 1-line block ×3, first 2 shown]
	v_div_fmas_f64 v[4:5], v[16:17], v[30:31], v[4:5]
	s_mov_b64 vcc, s[6:7]
	v_div_fixup_f64 v[4:5], v[4:5], v[6:7], v[8:9]
	v_div_fmas_f64 v[8:9], v[20:21], v[32:33], v[38:39]
	s_mov_b64 vcc, s[4:5]
	v_div_fixup_f64 v[6:7], v[8:9], v[6:7], -s[10:11]
	v_div_fmas_f64 v[8:9], v[14:15], v[28:29], v[36:37]
	s_mov_b64 vcc, s[2:3]
	ds_write_b128 v40, v[4:7]
	v_div_fmas_f64 v[6:7], v[12:13], v[18:19], v[34:35]
	v_div_fixup_f64 v[4:5], v[8:9], v[2:3], v[10:11]
	v_div_fixup_f64 v[6:7], v[6:7], v[2:3], -s[10:11]
	s_mov_b64 s[4:5], s[26:27]
	global_store_dwordx4 v40, v[4:7], s[16:17]
.LBB14_17:
	s_andn2_b64 vcc, exec, s[4:5]
	s_cbranch_vccz .LBB14_24
; %bb.18:
	s_andn2_b64 vcc, exec, s[30:31]
	s_cbranch_vccnz .LBB14_20
.LBB14_19:
	v_mov_b32_e32 v4, 0
	v_mov_b32_e32 v5, v4
	s_waitcnt vmcnt(0)
	global_store_dwordx4 v4, v[2:5], s[8:9]
.LBB14_20:
	s_or_b64 exec, exec, s[24:25]
	s_waitcnt lgkmcnt(0)
	s_barrier
	s_and_saveexec_b64 s[2:3], s[0:1]
	s_cbranch_execz .LBB14_23
; %bb.21:
	v_mad_u64_u32 v[6:7], s[2:3], s22, v0, 0
	v_mov_b32_e32 v8, v7
	s_add_i32 s15, s36, s33
	v_mad_u64_u32 v[8:9], s[2:3], s23, v0, v[8:9]
	s_lshl_b64 s[0:1], s[14:15], 4
	s_lshl_b64 s[2:3], s[20:21], 4
	s_waitcnt vmcnt(0)
	v_mov_b32_e32 v2, 0
	s_add_u32 s2, s18, s2
	ds_read_b128 v[2:5], v2
	s_addc_u32 s3, s19, s3
	s_add_u32 s0, s2, s0
	v_mov_b32_e32 v7, v8
	s_addc_u32 s1, s3, s1
	v_lshl_add_u64 v[6:7], v[6:7], 4, s[0:1]
	v_lshl_add_u64 v[6:7], v[6:7], 0, 8
	s_lshl_b64 s[0:1], s[22:23], 14
	s_mov_b64 s[2:3], 0
	s_mov_b64 s[4:5], 0x400
.LBB14_22:                              ; =>This Inner Loop Header: Depth=1
	global_load_dwordx4 v[8:11], v[6:7], off offset:-8
	v_lshl_add_u64 v[0:1], v[0:1], 0, s[4:5]
	v_cmp_le_i64_e32 vcc, s[12:13], v[0:1]
	s_or_b64 s[2:3], vcc, s[2:3]
	s_waitcnt vmcnt(0) lgkmcnt(0)
	v_mul_f64 v[14:15], v[4:5], v[10:11]
	v_mul_f64 v[12:13], v[2:3], v[10:11]
	v_fma_f64 v[10:11], v[2:3], v[8:9], -v[14:15]
	v_fmac_f64_e32 v[12:13], v[4:5], v[8:9]
	global_store_dwordx4 v[6:7], v[10:13], off offset:-8
	v_lshl_add_u64 v[6:7], v[6:7], 0, s[0:1]
	s_andn2_b64 exec, exec, s[2:3]
	s_cbranch_execnz .LBB14_22
.LBB14_23:
	s_endpgm
.LBB14_24:
	v_mov_b32_e32 v4, 0
	s_waitcnt vmcnt(0)
	global_store_dwordx2 v4, v[2:3], s[28:29]
	v_mov_b64_e32 v[2:3], 1.0
	s_branch .LBB14_19
	.section	.rodata,"a",@progbits
	.p2align	6, 0x0
	.amdhsa_kernel _ZN9rocsolver6v33100L18larfg_kernel_smallILi1024E19rocblas_complex_numIdEldPS3_EEvT1_T3_llPT2_llS6_lS5_lPT0_l
		.amdhsa_group_segment_fixed_size 256
		.amdhsa_private_segment_fixed_size 0
		.amdhsa_kernarg_size 104
		.amdhsa_user_sgpr_count 2
		.amdhsa_user_sgpr_dispatch_ptr 0
		.amdhsa_user_sgpr_queue_ptr 0
		.amdhsa_user_sgpr_kernarg_segment_ptr 1
		.amdhsa_user_sgpr_dispatch_id 0
		.amdhsa_user_sgpr_kernarg_preload_length 0
		.amdhsa_user_sgpr_kernarg_preload_offset 0
		.amdhsa_user_sgpr_private_segment_size 0
		.amdhsa_uses_dynamic_stack 0
		.amdhsa_enable_private_segment 0
		.amdhsa_system_sgpr_workgroup_id_x 1
		.amdhsa_system_sgpr_workgroup_id_y 0
		.amdhsa_system_sgpr_workgroup_id_z 1
		.amdhsa_system_sgpr_workgroup_info 0
		.amdhsa_system_vgpr_workitem_id 0
		.amdhsa_next_free_vgpr 41
		.amdhsa_next_free_sgpr 37
		.amdhsa_accum_offset 44
		.amdhsa_reserve_vcc 1
		.amdhsa_float_round_mode_32 0
		.amdhsa_float_round_mode_16_64 0
		.amdhsa_float_denorm_mode_32 3
		.amdhsa_float_denorm_mode_16_64 3
		.amdhsa_dx10_clamp 1
		.amdhsa_ieee_mode 1
		.amdhsa_fp16_overflow 0
		.amdhsa_tg_split 0
		.amdhsa_exception_fp_ieee_invalid_op 0
		.amdhsa_exception_fp_denorm_src 0
		.amdhsa_exception_fp_ieee_div_zero 0
		.amdhsa_exception_fp_ieee_overflow 0
		.amdhsa_exception_fp_ieee_underflow 0
		.amdhsa_exception_fp_ieee_inexact 0
		.amdhsa_exception_int_div_zero 0
	.end_amdhsa_kernel
	.section	.text._ZN9rocsolver6v33100L18larfg_kernel_smallILi1024E19rocblas_complex_numIdEldPS3_EEvT1_T3_llPT2_llS6_lS5_lPT0_l,"axG",@progbits,_ZN9rocsolver6v33100L18larfg_kernel_smallILi1024E19rocblas_complex_numIdEldPS3_EEvT1_T3_llPT2_llS6_lS5_lPT0_l,comdat
.Lfunc_end14:
	.size	_ZN9rocsolver6v33100L18larfg_kernel_smallILi1024E19rocblas_complex_numIdEldPS3_EEvT1_T3_llPT2_llS6_lS5_lPT0_l, .Lfunc_end14-_ZN9rocsolver6v33100L18larfg_kernel_smallILi1024E19rocblas_complex_numIdEldPS3_EEvT1_T3_llPT2_llS6_lS5_lPT0_l
                                        ; -- End function
	.set _ZN9rocsolver6v33100L18larfg_kernel_smallILi1024E19rocblas_complex_numIdEldPS3_EEvT1_T3_llPT2_llS6_lS5_lPT0_l.num_vgpr, 41
	.set _ZN9rocsolver6v33100L18larfg_kernel_smallILi1024E19rocblas_complex_numIdEldPS3_EEvT1_T3_llPT2_llS6_lS5_lPT0_l.num_agpr, 0
	.set _ZN9rocsolver6v33100L18larfg_kernel_smallILi1024E19rocblas_complex_numIdEldPS3_EEvT1_T3_llPT2_llS6_lS5_lPT0_l.numbered_sgpr, 37
	.set _ZN9rocsolver6v33100L18larfg_kernel_smallILi1024E19rocblas_complex_numIdEldPS3_EEvT1_T3_llPT2_llS6_lS5_lPT0_l.num_named_barrier, 0
	.set _ZN9rocsolver6v33100L18larfg_kernel_smallILi1024E19rocblas_complex_numIdEldPS3_EEvT1_T3_llPT2_llS6_lS5_lPT0_l.private_seg_size, 0
	.set _ZN9rocsolver6v33100L18larfg_kernel_smallILi1024E19rocblas_complex_numIdEldPS3_EEvT1_T3_llPT2_llS6_lS5_lPT0_l.uses_vcc, 1
	.set _ZN9rocsolver6v33100L18larfg_kernel_smallILi1024E19rocblas_complex_numIdEldPS3_EEvT1_T3_llPT2_llS6_lS5_lPT0_l.uses_flat_scratch, 0
	.set _ZN9rocsolver6v33100L18larfg_kernel_smallILi1024E19rocblas_complex_numIdEldPS3_EEvT1_T3_llPT2_llS6_lS5_lPT0_l.has_dyn_sized_stack, 0
	.set _ZN9rocsolver6v33100L18larfg_kernel_smallILi1024E19rocblas_complex_numIdEldPS3_EEvT1_T3_llPT2_llS6_lS5_lPT0_l.has_recursion, 0
	.set _ZN9rocsolver6v33100L18larfg_kernel_smallILi1024E19rocblas_complex_numIdEldPS3_EEvT1_T3_llPT2_llS6_lS5_lPT0_l.has_indirect_call, 0
	.section	.AMDGPU.csdata,"",@progbits
; Kernel info:
; codeLenInByte = 2328
; TotalNumSgprs: 43
; NumVgprs: 41
; NumAgprs: 0
; TotalNumVgprs: 41
; ScratchSize: 0
; MemoryBound: 0
; FloatMode: 240
; IeeeMode: 1
; LDSByteSize: 256 bytes/workgroup (compile time only)
; SGPRBlocks: 5
; VGPRBlocks: 5
; NumSGPRsForWavesPerEU: 43
; NumVGPRsForWavesPerEU: 41
; AccumOffset: 44
; Occupancy: 8
; WaveLimiterHint : 0
; COMPUTE_PGM_RSRC2:SCRATCH_EN: 0
; COMPUTE_PGM_RSRC2:USER_SGPR: 2
; COMPUTE_PGM_RSRC2:TRAP_HANDLER: 0
; COMPUTE_PGM_RSRC2:TGID_X_EN: 1
; COMPUTE_PGM_RSRC2:TGID_Y_EN: 0
; COMPUTE_PGM_RSRC2:TGID_Z_EN: 1
; COMPUTE_PGM_RSRC2:TIDIG_COMP_CNT: 0
; COMPUTE_PGM_RSRC3_GFX90A:ACCUM_OFFSET: 10
; COMPUTE_PGM_RSRC3_GFX90A:TG_SPLIT: 0
	.section	.text._ZN9rocsolver6v33100L18larfg_kernel_smallILi64E19rocblas_complex_numIdEldPKPS3_EEvT1_T3_llPT2_llS8_lS7_lPT0_l,"axG",@progbits,_ZN9rocsolver6v33100L18larfg_kernel_smallILi64E19rocblas_complex_numIdEldPKPS3_EEvT1_T3_llPT2_llS8_lS7_lPT0_l,comdat
	.globl	_ZN9rocsolver6v33100L18larfg_kernel_smallILi64E19rocblas_complex_numIdEldPKPS3_EEvT1_T3_llPT2_llS8_lS7_lPT0_l ; -- Begin function _ZN9rocsolver6v33100L18larfg_kernel_smallILi64E19rocblas_complex_numIdEldPKPS3_EEvT1_T3_llPT2_llS8_lS7_lPT0_l
	.p2align	8
	.type	_ZN9rocsolver6v33100L18larfg_kernel_smallILi64E19rocblas_complex_numIdEldPKPS3_EEvT1_T3_llPT2_llS8_lS7_lPT0_l,@function
_ZN9rocsolver6v33100L18larfg_kernel_smallILi64E19rocblas_complex_numIdEldPKPS3_EEvT1_T3_llPT2_llS8_lS7_lPT0_l: ; @_ZN9rocsolver6v33100L18larfg_kernel_smallILi64E19rocblas_complex_numIdEldPKPS3_EEvT1_T3_llPT2_llS8_lS7_lPT0_l
; %bb.0:
	s_mov_b32 s22, s3
	s_load_dwordx4 s[16:19], s[0:1], 0x0
	s_load_dwordx2 s[20:21], s[0:1], 0x10
	s_load_dwordx8 s[4:11], s[0:1], 0x20
	s_load_dwordx4 s[12:15], s[0:1], 0x40
	s_mov_b32 s23, 0
	s_lshl_b64 s[24:25], s[22:23], 3
	s_waitcnt lgkmcnt(0)
	s_add_u32 s2, s18, s24
	s_addc_u32 s3, s19, s25
	s_add_u32 s10, s10, s24
	s_addc_u32 s11, s11, s25
	s_load_dwordx2 s[10:11], s[10:11], 0x0
	s_cmp_eq_u64 s[4:5], 0
	s_mov_b64 s[18:19], 0
	s_cbranch_scc1 .LBB15_2
; %bb.1:
	s_mul_i32 s9, s9, s22
	s_mul_hi_u32 s18, s8, s22
	s_add_i32 s9, s18, s9
	s_mul_i32 s8, s8, s22
	s_lshl_b64 s[8:9], s[8:9], 3
	s_add_u32 s8, s4, s8
	s_addc_u32 s9, s5, s9
	s_lshl_b64 s[4:5], s[6:7], 3
	s_add_u32 s18, s8, s4
	s_addc_u32 s19, s9, s5
.LBB15_2:
	s_load_dwordx2 s[4:5], s[2:3], 0x0
	s_add_u32 s8, s16, -1
	v_mov_b32_e32 v1, 0
	s_addc_u32 s9, s17, -1
	v_cmp_gt_i64_e64 s[2:3], s[8:9], v[0:1]
	v_mov_b64_e32 v[2:3], 0
	v_mov_b64_e32 v[4:5], 0
	s_and_saveexec_b64 s[6:7], s[2:3]
	s_cbranch_execz .LBB15_6
; %bb.3:
	v_mad_u64_u32 v[2:3], s[16:17], s14, v0, 0
	v_mov_b32_e32 v4, v3
	v_mad_u64_u32 v[4:5], s[16:17], s15, v0, v[4:5]
	s_lshl_b64 s[16:17], s[12:13], 4
	s_waitcnt lgkmcnt(0)
	s_add_u32 s16, s10, s16
	v_mov_b32_e32 v3, v4
	s_addc_u32 s17, s11, s17
	v_lshl_add_u64 v[6:7], v[2:3], 4, s[16:17]
	s_lshl_b64 s[16:17], s[14:15], 10
	v_mov_b64_e32 v[2:3], 0
	s_mov_b64 s[24:25], 0
	v_mov_b64_e32 v[8:9], v[0:1]
	v_mov_b64_e32 v[4:5], 0
.LBB15_4:                               ; =>This Inner Loop Header: Depth=1
	flat_load_dwordx4 v[10:13], v[6:7]
	v_lshl_add_u64 v[8:9], v[8:9], 0, 64
	v_cmp_le_i64_e32 vcc, s[8:9], v[8:9]
	v_lshl_add_u64 v[6:7], v[6:7], 0, s[16:17]
	s_or_b64 s[24:25], vcc, s[24:25]
	s_waitcnt vmcnt(0) lgkmcnt(0)
	v_mul_f64 v[14:15], v[12:13], v[12:13]
	v_mul_f64 v[16:17], v[10:11], v[12:13]
	v_fmac_f64_e32 v[14:15], v[10:11], v[10:11]
	v_fma_f64 v[10:11], v[10:11], v[12:13], -v[16:17]
	v_add_f64 v[4:5], v[4:5], v[14:15]
	v_add_f64 v[2:3], v[2:3], v[10:11]
	s_andn2_b64 exec, exec, s[24:25]
	s_cbranch_execnz .LBB15_4
; %bb.5:
	s_or_b64 exec, exec, s[24:25]
.LBB15_6:
	s_or_b64 exec, exec, s[6:7]
	v_mbcnt_lo_u32_b32 v6, -1, 0
	v_mbcnt_hi_u32_b32 v10, -1, v6
	v_and_b32_e32 v11, 63, v10
	v_cmp_ne_u32_e32 vcc, 63, v11
	s_nop 1
	v_addc_co_u32_e32 v6, vcc, 0, v10, vcc
	v_lshlrev_b32_e32 v9, 2, v6
	ds_bpermute_b32 v6, v9, v4
	ds_bpermute_b32 v7, v9, v5
	;; [unrolled: 1-line block ×4, first 2 shown]
	v_cmp_gt_u32_e32 vcc, 62, v11
	s_waitcnt lgkmcnt(0)
	v_add_f64 v[4:5], v[4:5], v[6:7]
	v_cndmask_b32_e64 v6, 0, 2, vcc
	v_add_f64 v[2:3], v[2:3], v[8:9]
	v_add_lshl_u32 v9, v6, v10, 2
	ds_bpermute_b32 v6, v9, v4
	ds_bpermute_b32 v7, v9, v5
	ds_bpermute_b32 v8, v9, v2
	ds_bpermute_b32 v9, v9, v3
	v_cmp_gt_u32_e32 vcc, 60, v11
	s_waitcnt lgkmcnt(2)
	v_add_f64 v[4:5], v[4:5], v[6:7]
	v_cndmask_b32_e64 v6, 0, 4, vcc
	s_waitcnt lgkmcnt(0)
	v_add_f64 v[2:3], v[2:3], v[8:9]
	v_add_lshl_u32 v9, v6, v10, 2
	ds_bpermute_b32 v6, v9, v4
	ds_bpermute_b32 v7, v9, v5
	ds_bpermute_b32 v8, v9, v2
	ds_bpermute_b32 v9, v9, v3
	v_cmp_gt_u32_e32 vcc, 56, v11
	s_waitcnt lgkmcnt(2)
	v_add_f64 v[4:5], v[4:5], v[6:7]
	v_cndmask_b32_e64 v6, 0, 8, vcc
	s_waitcnt lgkmcnt(0)
	;; [unrolled: 11-line block ×3, first 2 shown]
	v_add_f64 v[2:3], v[2:3], v[8:9]
	v_add_lshl_u32 v9, v6, v10, 2
	ds_bpermute_b32 v6, v9, v4
	ds_bpermute_b32 v7, v9, v5
	;; [unrolled: 1-line block ×4, first 2 shown]
	v_cmp_eq_u32_e32 vcc, 0, v0
	s_waitcnt lgkmcnt(2)
	v_add_f64 v[4:5], v[4:5], v[6:7]
	s_waitcnt lgkmcnt(0)
	v_add_f64 v[6:7], v[2:3], v[8:9]
	v_mov_b32_e32 v2, 0x80
	v_lshl_or_b32 v9, v10, 2, v2
	ds_bpermute_b32 v2, v9, v4
	ds_bpermute_b32 v3, v9, v5
	;; [unrolled: 1-line block ×4, first 2 shown]
	s_waitcnt lgkmcnt(2)
	v_add_f64 v[2:3], v[4:5], v[2:3]
	s_waitcnt lgkmcnt(0)
	v_add_f64 v[4:5], v[6:7], v[8:9]
	s_and_saveexec_b64 s[6:7], vcc
; %bb.7:
	v_lshrrev_b32_e32 v6, 2, v0
	ds_write_b128 v6, v[2:5]
; %bb.8:
	s_or_b64 exec, exec, s[6:7]
	v_cmp_eq_u32_e32 vcc, 0, v0
	s_waitcnt lgkmcnt(0)
	; wave barrier
	s_and_saveexec_b64 s[6:7], vcc
; %bb.9:
	v_mov_b32_e32 v6, 0
	ds_write_b128 v6, v[2:5]
; %bb.10:
	s_or_b64 exec, exec, s[6:7]
	s_waitcnt lgkmcnt(0)
	; wave barrier
	s_and_saveexec_b64 s[16:17], vcc
	s_cbranch_execz .LBB15_18
; %bb.11:
	s_lshl_b64 s[6:7], s[20:21], 4
	s_add_u32 s20, s4, s6
	s_addc_u32 s21, s5, s7
	v_mov_b64_e32 v[2:3], s[20:21]
	flat_load_dwordx2 v[6:7], v[2:3] offset:8
	s_load_dwordx4 s[4:7], s[0:1], 0x58
	v_mov_b32_e32 v4, 0
	ds_read_b64 v[10:11], v4
	s_mov_b64 s[26:27], 0
	s_waitcnt lgkmcnt(0)
	s_mul_i32 s1, s7, s22
	s_mul_hi_u32 s7, s6, s22
	s_mul_i32 s0, s6, s22
	s_add_i32 s1, s7, s1
	s_lshl_b64 s[0:1], s[0:1], 4
	s_add_u32 s22, s4, s0
	s_addc_u32 s23, s5, s1
	v_max_f64 v[2:3], v[10:11], v[10:11]
	s_cmp_eq_u64 s[18:19], 0
	s_cselect_b64 s[4:5], -1, 0
	s_cmp_lg_u64 s[18:19], 0
	s_cselect_b64 s[0:1], -1, 0
	s_mov_b64 s[6:7], 0
	s_waitcnt vmcnt(0)
	v_mul_f64 v[8:9], v[6:7], v[6:7]
	v_max_f64 v[2:3], v[2:3], v[8:9]
	v_cmp_nlt_f64_e32 vcc, 0, v[2:3]
                                        ; implicit-def: $vgpr2_vgpr3
	s_and_saveexec_b64 s[24:25], vcc
	s_xor_b64 s[24:25], exec, s[24:25]
	s_cbranch_execz .LBB15_14
; %bb.12:
	v_mov_b32_e32 v5, 0x3ff00000
	v_mov_b32_e32 v6, v4
	;; [unrolled: 1-line block ×3, first 2 shown]
	ds_write_b128 v4, v[4:7]
	v_mov_b32_e32 v5, v4
	s_and_b64 vcc, exec, s[0:1]
	global_store_dwordx4 v4, v[4:7], s[22:23]
	s_cbranch_vccz .LBB15_22
; %bb.13:
	v_mov_b64_e32 v[2:3], s[20:21]
	flat_load_dwordx2 v[2:3], v[2:3]
	s_mov_b64 s[6:7], -1
	s_and_b64 s[6:7], s[6:7], exec
                                        ; implicit-def: $vgpr8_vgpr9
                                        ; implicit-def: $vgpr10_vgpr11
                                        ; implicit-def: $vgpr6_vgpr7
	s_andn2_saveexec_b64 s[24:25], s[24:25]
	s_cbranch_execz .LBB15_23
	s_branch .LBB15_15
.LBB15_14:
	s_andn2_saveexec_b64 s[24:25], s[24:25]
	s_cbranch_execz .LBB15_23
.LBB15_15:
	s_waitcnt vmcnt(0) lgkmcnt(0)
	v_mov_b64_e32 v[2:3], s[20:21]
	flat_load_dwordx2 v[4:5], v[2:3]
	s_mov_b32 s28, 0
	s_brev_b32 s29, 8
	v_mov_b32_e32 v12, 0x100
	v_mov_b32_e32 v13, 0xffffff80
	;; [unrolled: 1-line block ×3, first 2 shown]
	s_and_b64 s[30:31], s[0:1], exec
	s_and_b64 s[26:27], s[4:5], exec
	v_mov_b32_e32 v42, 0
	s_waitcnt vmcnt(0) lgkmcnt(0)
	v_fma_f64 v[2:3], v[4:5], v[4:5], v[8:9]
	v_add_f64 v[2:3], v[10:11], v[2:3]
	v_cmp_gt_f64_e32 vcc, s[28:29], v[2:3]
	s_andn2_b64 s[28:29], s[6:7], exec
	s_nop 0
	v_cndmask_b32_e32 v10, 0, v12, vcc
	v_ldexp_f64 v[2:3], v[2:3], v10
	v_rsq_f64_e32 v[10:11], v[2:3]
	v_cndmask_b32_e32 v17, 0, v13, vcc
	v_cmp_class_f64_e32 vcc, v[2:3], v16
	v_mul_f64 v[12:13], v[2:3], v[10:11]
	v_mul_f64 v[10:11], v[10:11], 0.5
	v_fma_f64 v[14:15], -v[10:11], v[12:13], 0.5
	v_fmac_f64_e32 v[12:13], v[12:13], v[14:15]
	v_fmac_f64_e32 v[10:11], v[10:11], v[14:15]
	v_fma_f64 v[14:15], -v[12:13], v[12:13], v[2:3]
	v_fmac_f64_e32 v[12:13], v[14:15], v[10:11]
	v_fma_f64 v[14:15], -v[12:13], v[12:13], v[2:3]
	v_fmac_f64_e32 v[12:13], v[14:15], v[10:11]
	v_ldexp_f64 v[10:11], v[12:13], v17
	v_cndmask_b32_e32 v3, v11, v3, vcc
	v_cndmask_b32_e32 v2, v10, v2, vcc
	v_xor_b32_e32 v10, 0x80000000, v3
	v_cmp_le_f64_e32 vcc, 0, v[4:5]
	s_nop 1
	v_cndmask_b32_e32 v3, v3, v10, vcc
	v_add_f64 v[10:11], v[4:5], -v[2:3]
	v_add_f64 v[4:5], v[2:3], -v[4:5]
	v_div_scale_f64 v[12:13], s[0:1], v[2:3], v[2:3], -v[6:7]
	v_fmac_f64_e32 v[8:9], v[10:11], v[10:11]
	v_div_scale_f64 v[16:17], s[4:5], v[2:3], v[2:3], v[4:5]
	v_rcp_f64_e32 v[20:21], v[12:13]
	v_div_scale_f64 v[22:23], s[6:7], v[8:9], v[8:9], v[10:11]
	v_div_scale_f64 v[26:27], s[6:7], v[8:9], v[8:9], -v[6:7]
	v_rcp_f64_e32 v[30:31], v[16:17]
	v_rcp_f64_e32 v[32:33], v[22:23]
	;; [unrolled: 1-line block ×3, first 2 shown]
	v_fma_f64 v[36:37], -v[12:13], v[20:21], 1.0
	v_fma_f64 v[38:39], -v[16:17], v[30:31], 1.0
	v_fmac_f64_e32 v[20:21], v[20:21], v[36:37]
	v_fma_f64 v[36:37], -v[22:23], v[32:33], 1.0
	v_fma_f64 v[40:41], -v[26:27], v[34:35], 1.0
	v_fmac_f64_e32 v[30:31], v[30:31], v[38:39]
	v_fma_f64 v[38:39], -v[12:13], v[20:21], 1.0
	v_fmac_f64_e32 v[32:33], v[32:33], v[36:37]
	v_div_scale_f64 v[14:15], s[0:1], -v[6:7], v[2:3], -v[6:7]
	v_fmac_f64_e32 v[34:35], v[34:35], v[40:41]
	v_fma_f64 v[36:37], -v[16:17], v[30:31], 1.0
	v_fmac_f64_e32 v[20:21], v[20:21], v[38:39]
	v_fma_f64 v[38:39], -v[22:23], v[32:33], 1.0
	v_div_scale_f64 v[18:19], s[4:5], v[4:5], v[2:3], v[4:5]
	v_div_scale_f64 v[24:25], vcc, v[10:11], v[8:9], v[10:11]
	v_fma_f64 v[40:41], -v[26:27], v[34:35], 1.0
	v_fmac_f64_e32 v[30:31], v[30:31], v[36:37]
	v_mul_f64 v[36:37], v[14:15], v[20:21]
	v_fmac_f64_e32 v[32:33], v[32:33], v[38:39]
	v_div_scale_f64 v[28:29], s[6:7], -v[6:7], v[8:9], -v[6:7]
	v_fmac_f64_e32 v[34:35], v[34:35], v[40:41]
	v_mul_f64 v[38:39], v[18:19], v[30:31]
	v_fma_f64 v[14:15], -v[12:13], v[36:37], v[14:15]
	v_mul_f64 v[12:13], v[24:25], v[32:33]
	v_mul_f64 v[40:41], v[28:29], v[34:35]
	v_fma_f64 v[16:17], -v[16:17], v[38:39], v[18:19]
	v_fma_f64 v[18:19], -v[22:23], v[12:13], v[24:25]
	;; [unrolled: 1-line block ×3, first 2 shown]
	v_div_fmas_f64 v[12:13], v[18:19], v[32:33], v[12:13]
	s_mov_b64 vcc, s[6:7]
	v_div_fixup_f64 v[10:11], v[12:13], v[8:9], v[10:11]
	v_div_fmas_f64 v[12:13], v[22:23], v[34:35], v[40:41]
	s_mov_b64 vcc, s[4:5]
	v_div_fixup_f64 v[12:13], v[12:13], v[8:9], -v[6:7]
	v_div_fmas_f64 v[8:9], v[16:17], v[30:31], v[38:39]
	s_mov_b64 vcc, s[0:1]
	v_div_fixup_f64 v[4:5], v[8:9], v[2:3], v[4:5]
	v_div_fmas_f64 v[8:9], v[14:15], v[20:21], v[36:37]
	v_div_fixup_f64 v[6:7], v[8:9], v[2:3], -v[6:7]
	ds_write_b128 v42, v[10:13]
	global_store_dwordx4 v42, v[4:7], s[22:23]
	s_or_b64 s[6:7], s[28:29], s[30:31]
	s_or_b64 exec, exec, s[24:25]
	s_and_saveexec_b64 s[0:1], s[6:7]
	s_cbranch_execnz .LBB15_24
.LBB15_16:
	s_or_b64 exec, exec, s[0:1]
	s_and_b64 exec, exec, s[26:27]
	s_cbranch_execz .LBB15_18
.LBB15_17:
	v_mov_b32_e32 v4, 0
	v_mov_b32_e32 v5, v4
	v_mov_b64_e32 v[6:7], s[20:21]
	s_waitcnt vmcnt(0) lgkmcnt(0)
	flat_store_dwordx4 v[6:7], v[2:5]
.LBB15_18:
	s_or_b64 exec, exec, s[16:17]
	s_waitcnt lgkmcnt(0)
	; wave barrier
	s_and_saveexec_b64 s[0:1], s[2:3]
	s_cbranch_execz .LBB15_21
; %bb.19:
	v_mad_u64_u32 v[6:7], s[0:1], s14, v0, 0
	s_waitcnt vmcnt(0)
	v_mov_b32_e32 v2, 0
	v_mov_b32_e32 v8, v7
	ds_read_b128 v[2:5], v2
	v_mad_u64_u32 v[8:9], s[0:1], s15, v0, v[8:9]
	s_lshl_b64 s[0:1], s[12:13], 4
	s_add_u32 s0, s10, s0
	v_mov_b32_e32 v7, v8
	s_addc_u32 s1, s11, s1
	v_lshl_add_u64 v[6:7], v[6:7], 4, s[0:1]
	s_lshl_b64 s[0:1], s[14:15], 10
	s_mov_b64 s[2:3], 0
.LBB15_20:                              ; =>This Inner Loop Header: Depth=1
	flat_load_dwordx4 v[8:11], v[6:7]
	v_lshl_add_u64 v[0:1], v[0:1], 0, 64
	v_cmp_le_i64_e32 vcc, s[8:9], v[0:1]
	s_or_b64 s[2:3], vcc, s[2:3]
	s_waitcnt vmcnt(0) lgkmcnt(0)
	v_mul_f64 v[14:15], v[4:5], v[10:11]
	v_mul_f64 v[12:13], v[2:3], v[10:11]
	v_fma_f64 v[10:11], v[2:3], v[8:9], -v[14:15]
	v_fmac_f64_e32 v[12:13], v[4:5], v[8:9]
	flat_store_dwordx4 v[6:7], v[10:13]
	v_lshl_add_u64 v[6:7], v[6:7], 0, s[0:1]
	s_andn2_b64 exec, exec, s[2:3]
	s_cbranch_execnz .LBB15_20
.LBB15_21:
	s_endpgm
.LBB15_22:
                                        ; implicit-def: $vgpr2_vgpr3
	s_and_b64 s[6:7], s[6:7], exec
                                        ; implicit-def: $vgpr8_vgpr9
                                        ; implicit-def: $vgpr10_vgpr11
                                        ; implicit-def: $vgpr6_vgpr7
	s_andn2_saveexec_b64 s[24:25], s[24:25]
	s_cbranch_execnz .LBB15_15
.LBB15_23:
	s_or_b64 exec, exec, s[24:25]
	s_and_saveexec_b64 s[0:1], s[6:7]
	s_cbranch_execz .LBB15_16
.LBB15_24:
	v_mov_b32_e32 v4, 0
	s_waitcnt vmcnt(0) lgkmcnt(0)
	global_store_dwordx2 v4, v[2:3], s[18:19]
	v_mov_b64_e32 v[2:3], 1.0
	s_or_b64 s[26:27], s[26:27], exec
	s_or_b64 exec, exec, s[0:1]
	s_and_b64 exec, exec, s[26:27]
	s_cbranch_execnz .LBB15_17
	s_branch .LBB15_18
	.section	.rodata,"a",@progbits
	.p2align	6, 0x0
	.amdhsa_kernel _ZN9rocsolver6v33100L18larfg_kernel_smallILi64E19rocblas_complex_numIdEldPKPS3_EEvT1_T3_llPT2_llS8_lS7_lPT0_l
		.amdhsa_group_segment_fixed_size 16
		.amdhsa_private_segment_fixed_size 0
		.amdhsa_kernarg_size 104
		.amdhsa_user_sgpr_count 2
		.amdhsa_user_sgpr_dispatch_ptr 0
		.amdhsa_user_sgpr_queue_ptr 0
		.amdhsa_user_sgpr_kernarg_segment_ptr 1
		.amdhsa_user_sgpr_dispatch_id 0
		.amdhsa_user_sgpr_kernarg_preload_length 0
		.amdhsa_user_sgpr_kernarg_preload_offset 0
		.amdhsa_user_sgpr_private_segment_size 0
		.amdhsa_uses_dynamic_stack 0
		.amdhsa_enable_private_segment 0
		.amdhsa_system_sgpr_workgroup_id_x 1
		.amdhsa_system_sgpr_workgroup_id_y 0
		.amdhsa_system_sgpr_workgroup_id_z 1
		.amdhsa_system_sgpr_workgroup_info 0
		.amdhsa_system_vgpr_workitem_id 0
		.amdhsa_next_free_vgpr 43
		.amdhsa_next_free_sgpr 32
		.amdhsa_accum_offset 44
		.amdhsa_reserve_vcc 1
		.amdhsa_float_round_mode_32 0
		.amdhsa_float_round_mode_16_64 0
		.amdhsa_float_denorm_mode_32 3
		.amdhsa_float_denorm_mode_16_64 3
		.amdhsa_dx10_clamp 1
		.amdhsa_ieee_mode 1
		.amdhsa_fp16_overflow 0
		.amdhsa_tg_split 0
		.amdhsa_exception_fp_ieee_invalid_op 0
		.amdhsa_exception_fp_denorm_src 0
		.amdhsa_exception_fp_ieee_div_zero 0
		.amdhsa_exception_fp_ieee_overflow 0
		.amdhsa_exception_fp_ieee_underflow 0
		.amdhsa_exception_fp_ieee_inexact 0
		.amdhsa_exception_int_div_zero 0
	.end_amdhsa_kernel
	.section	.text._ZN9rocsolver6v33100L18larfg_kernel_smallILi64E19rocblas_complex_numIdEldPKPS3_EEvT1_T3_llPT2_llS8_lS7_lPT0_l,"axG",@progbits,_ZN9rocsolver6v33100L18larfg_kernel_smallILi64E19rocblas_complex_numIdEldPKPS3_EEvT1_T3_llPT2_llS8_lS7_lPT0_l,comdat
.Lfunc_end15:
	.size	_ZN9rocsolver6v33100L18larfg_kernel_smallILi64E19rocblas_complex_numIdEldPKPS3_EEvT1_T3_llPT2_llS8_lS7_lPT0_l, .Lfunc_end15-_ZN9rocsolver6v33100L18larfg_kernel_smallILi64E19rocblas_complex_numIdEldPKPS3_EEvT1_T3_llPT2_llS8_lS7_lPT0_l
                                        ; -- End function
	.set _ZN9rocsolver6v33100L18larfg_kernel_smallILi64E19rocblas_complex_numIdEldPKPS3_EEvT1_T3_llPT2_llS8_lS7_lPT0_l.num_vgpr, 43
	.set _ZN9rocsolver6v33100L18larfg_kernel_smallILi64E19rocblas_complex_numIdEldPKPS3_EEvT1_T3_llPT2_llS8_lS7_lPT0_l.num_agpr, 0
	.set _ZN9rocsolver6v33100L18larfg_kernel_smallILi64E19rocblas_complex_numIdEldPKPS3_EEvT1_T3_llPT2_llS8_lS7_lPT0_l.numbered_sgpr, 32
	.set _ZN9rocsolver6v33100L18larfg_kernel_smallILi64E19rocblas_complex_numIdEldPKPS3_EEvT1_T3_llPT2_llS8_lS7_lPT0_l.num_named_barrier, 0
	.set _ZN9rocsolver6v33100L18larfg_kernel_smallILi64E19rocblas_complex_numIdEldPKPS3_EEvT1_T3_llPT2_llS8_lS7_lPT0_l.private_seg_size, 0
	.set _ZN9rocsolver6v33100L18larfg_kernel_smallILi64E19rocblas_complex_numIdEldPKPS3_EEvT1_T3_llPT2_llS8_lS7_lPT0_l.uses_vcc, 1
	.set _ZN9rocsolver6v33100L18larfg_kernel_smallILi64E19rocblas_complex_numIdEldPKPS3_EEvT1_T3_llPT2_llS8_lS7_lPT0_l.uses_flat_scratch, 0
	.set _ZN9rocsolver6v33100L18larfg_kernel_smallILi64E19rocblas_complex_numIdEldPKPS3_EEvT1_T3_llPT2_llS8_lS7_lPT0_l.has_dyn_sized_stack, 0
	.set _ZN9rocsolver6v33100L18larfg_kernel_smallILi64E19rocblas_complex_numIdEldPKPS3_EEvT1_T3_llPT2_llS8_lS7_lPT0_l.has_recursion, 0
	.set _ZN9rocsolver6v33100L18larfg_kernel_smallILi64E19rocblas_complex_numIdEldPKPS3_EEvT1_T3_llPT2_llS8_lS7_lPT0_l.has_indirect_call, 0
	.section	.AMDGPU.csdata,"",@progbits
; Kernel info:
; codeLenInByte = 1932
; TotalNumSgprs: 38
; NumVgprs: 43
; NumAgprs: 0
; TotalNumVgprs: 43
; ScratchSize: 0
; MemoryBound: 0
; FloatMode: 240
; IeeeMode: 1
; LDSByteSize: 16 bytes/workgroup (compile time only)
; SGPRBlocks: 4
; VGPRBlocks: 5
; NumSGPRsForWavesPerEU: 38
; NumVGPRsForWavesPerEU: 43
; AccumOffset: 44
; Occupancy: 8
; WaveLimiterHint : 1
; COMPUTE_PGM_RSRC2:SCRATCH_EN: 0
; COMPUTE_PGM_RSRC2:USER_SGPR: 2
; COMPUTE_PGM_RSRC2:TRAP_HANDLER: 0
; COMPUTE_PGM_RSRC2:TGID_X_EN: 1
; COMPUTE_PGM_RSRC2:TGID_Y_EN: 0
; COMPUTE_PGM_RSRC2:TGID_Z_EN: 1
; COMPUTE_PGM_RSRC2:TIDIG_COMP_CNT: 0
; COMPUTE_PGM_RSRC3_GFX90A:ACCUM_OFFSET: 10
; COMPUTE_PGM_RSRC3_GFX90A:TG_SPLIT: 0
	.section	.text._ZN9rocsolver6v33100L18larfg_kernel_smallILi128E19rocblas_complex_numIdEldPKPS3_EEvT1_T3_llPT2_llS8_lS7_lPT0_l,"axG",@progbits,_ZN9rocsolver6v33100L18larfg_kernel_smallILi128E19rocblas_complex_numIdEldPKPS3_EEvT1_T3_llPT2_llS8_lS7_lPT0_l,comdat
	.globl	_ZN9rocsolver6v33100L18larfg_kernel_smallILi128E19rocblas_complex_numIdEldPKPS3_EEvT1_T3_llPT2_llS8_lS7_lPT0_l ; -- Begin function _ZN9rocsolver6v33100L18larfg_kernel_smallILi128E19rocblas_complex_numIdEldPKPS3_EEvT1_T3_llPT2_llS8_lS7_lPT0_l
	.p2align	8
	.type	_ZN9rocsolver6v33100L18larfg_kernel_smallILi128E19rocblas_complex_numIdEldPKPS3_EEvT1_T3_llPT2_llS8_lS7_lPT0_l,@function
_ZN9rocsolver6v33100L18larfg_kernel_smallILi128E19rocblas_complex_numIdEldPKPS3_EEvT1_T3_llPT2_llS8_lS7_lPT0_l: ; @_ZN9rocsolver6v33100L18larfg_kernel_smallILi128E19rocblas_complex_numIdEldPKPS3_EEvT1_T3_llPT2_llS8_lS7_lPT0_l
; %bb.0:
	s_mov_b32 s22, s3
	s_load_dwordx4 s[16:19], s[0:1], 0x0
	s_load_dwordx2 s[20:21], s[0:1], 0x10
	s_load_dwordx8 s[4:11], s[0:1], 0x20
	s_load_dwordx4 s[12:15], s[0:1], 0x40
	s_mov_b32 s23, 0
	s_lshl_b64 s[24:25], s[22:23], 3
	s_waitcnt lgkmcnt(0)
	s_add_u32 s2, s18, s24
	s_addc_u32 s3, s19, s25
	s_add_u32 s10, s10, s24
	s_addc_u32 s11, s11, s25
	s_load_dwordx2 s[10:11], s[10:11], 0x0
	s_cmp_eq_u64 s[4:5], 0
	s_mov_b64 s[18:19], 0
	s_cbranch_scc1 .LBB16_2
; %bb.1:
	s_mul_i32 s9, s9, s22
	s_mul_hi_u32 s18, s8, s22
	s_add_i32 s9, s18, s9
	s_mul_i32 s8, s8, s22
	s_lshl_b64 s[8:9], s[8:9], 3
	s_add_u32 s8, s4, s8
	s_addc_u32 s9, s5, s9
	s_lshl_b64 s[4:5], s[6:7], 3
	s_add_u32 s18, s8, s4
	s_addc_u32 s19, s9, s5
.LBB16_2:
	s_load_dwordx2 s[4:5], s[2:3], 0x0
	s_add_u32 s8, s16, -1
	v_mov_b32_e32 v1, 0
	s_addc_u32 s9, s17, -1
	v_cmp_gt_i64_e64 s[2:3], s[8:9], v[0:1]
	v_mov_b64_e32 v[2:3], 0
	v_mov_b64_e32 v[4:5], 0
	s_and_saveexec_b64 s[6:7], s[2:3]
	s_cbranch_execz .LBB16_6
; %bb.3:
	v_mad_u64_u32 v[2:3], s[16:17], s14, v0, 0
	v_mov_b32_e32 v4, v3
	v_mad_u64_u32 v[4:5], s[16:17], s15, v0, v[4:5]
	s_lshl_b64 s[16:17], s[12:13], 4
	s_waitcnt lgkmcnt(0)
	s_add_u32 s16, s10, s16
	v_mov_b32_e32 v3, v4
	s_addc_u32 s17, s11, s17
	v_lshl_add_u64 v[6:7], v[2:3], 4, s[16:17]
	s_lshl_b64 s[16:17], s[14:15], 11
	v_mov_b64_e32 v[2:3], 0
	s_mov_b64 s[24:25], 0
	s_mov_b64 s[26:27], 0x80
	v_mov_b64_e32 v[8:9], v[0:1]
	v_mov_b64_e32 v[4:5], 0
.LBB16_4:                               ; =>This Inner Loop Header: Depth=1
	flat_load_dwordx4 v[10:13], v[6:7]
	v_lshl_add_u64 v[8:9], v[8:9], 0, s[26:27]
	v_cmp_le_i64_e32 vcc, s[8:9], v[8:9]
	v_lshl_add_u64 v[6:7], v[6:7], 0, s[16:17]
	s_or_b64 s[24:25], vcc, s[24:25]
	s_waitcnt vmcnt(0) lgkmcnt(0)
	v_mul_f64 v[14:15], v[12:13], v[12:13]
	v_mul_f64 v[16:17], v[10:11], v[12:13]
	v_fmac_f64_e32 v[14:15], v[10:11], v[10:11]
	v_fma_f64 v[10:11], v[10:11], v[12:13], -v[16:17]
	v_add_f64 v[4:5], v[4:5], v[14:15]
	v_add_f64 v[2:3], v[2:3], v[10:11]
	s_andn2_b64 exec, exec, s[24:25]
	s_cbranch_execnz .LBB16_4
; %bb.5:
	s_or_b64 exec, exec, s[24:25]
.LBB16_6:
	s_or_b64 exec, exec, s[6:7]
	v_mbcnt_lo_u32_b32 v6, -1, 0
	v_mbcnt_hi_u32_b32 v10, -1, v6
	v_and_b32_e32 v11, 63, v10
	v_cmp_ne_u32_e32 vcc, 63, v11
	s_nop 1
	v_addc_co_u32_e32 v6, vcc, 0, v10, vcc
	v_lshlrev_b32_e32 v9, 2, v6
	ds_bpermute_b32 v6, v9, v4
	ds_bpermute_b32 v7, v9, v5
	;; [unrolled: 1-line block ×4, first 2 shown]
	v_cmp_gt_u32_e32 vcc, 62, v11
	s_waitcnt lgkmcnt(0)
	v_add_f64 v[4:5], v[4:5], v[6:7]
	v_cndmask_b32_e64 v6, 0, 2, vcc
	v_add_f64 v[2:3], v[2:3], v[8:9]
	v_add_lshl_u32 v9, v6, v10, 2
	ds_bpermute_b32 v6, v9, v4
	ds_bpermute_b32 v7, v9, v5
	ds_bpermute_b32 v8, v9, v2
	ds_bpermute_b32 v9, v9, v3
	v_cmp_gt_u32_e32 vcc, 60, v11
	s_waitcnt lgkmcnt(2)
	v_add_f64 v[4:5], v[4:5], v[6:7]
	v_cndmask_b32_e64 v6, 0, 4, vcc
	s_waitcnt lgkmcnt(0)
	v_add_f64 v[2:3], v[2:3], v[8:9]
	v_add_lshl_u32 v9, v6, v10, 2
	ds_bpermute_b32 v6, v9, v4
	ds_bpermute_b32 v7, v9, v5
	ds_bpermute_b32 v8, v9, v2
	ds_bpermute_b32 v9, v9, v3
	v_cmp_gt_u32_e32 vcc, 56, v11
	s_waitcnt lgkmcnt(2)
	v_add_f64 v[4:5], v[4:5], v[6:7]
	v_cndmask_b32_e64 v6, 0, 8, vcc
	s_waitcnt lgkmcnt(0)
	;; [unrolled: 11-line block ×3, first 2 shown]
	v_add_f64 v[2:3], v[2:3], v[8:9]
	v_add_lshl_u32 v9, v6, v10, 2
	ds_bpermute_b32 v6, v9, v4
	ds_bpermute_b32 v7, v9, v5
	;; [unrolled: 1-line block ×4, first 2 shown]
	s_waitcnt lgkmcnt(2)
	v_add_f64 v[4:5], v[4:5], v[6:7]
	s_waitcnt lgkmcnt(0)
	v_add_f64 v[6:7], v[2:3], v[8:9]
	v_mov_b32_e32 v2, 0x80
	v_lshl_or_b32 v9, v10, 2, v2
	ds_bpermute_b32 v2, v9, v4
	ds_bpermute_b32 v3, v9, v5
	;; [unrolled: 1-line block ×4, first 2 shown]
	s_waitcnt lgkmcnt(2)
	v_add_f64 v[2:3], v[4:5], v[2:3]
	s_waitcnt lgkmcnt(0)
	v_add_f64 v[4:5], v[6:7], v[8:9]
	v_and_b32_e32 v6, 63, v0
	v_cmp_eq_u32_e32 vcc, 0, v6
	s_and_saveexec_b64 s[6:7], vcc
; %bb.7:
	v_lshrrev_b32_e32 v6, 2, v0
	ds_write_b128 v6, v[2:5]
; %bb.8:
	s_or_b64 exec, exec, s[6:7]
	v_cmp_eq_u32_e32 vcc, 0, v0
	s_waitcnt lgkmcnt(0)
	s_barrier
	s_and_saveexec_b64 s[6:7], vcc
	s_cbranch_execz .LBB16_10
; %bb.9:
	v_mov_b32_e32 v10, 0
	ds_read_b128 v[6:9], v10 offset:16
	s_waitcnt lgkmcnt(0)
	v_add_f64 v[4:5], v[4:5], v[8:9]
	v_add_f64 v[2:3], v[2:3], v[6:7]
	ds_write_b128 v10, v[2:5]
.LBB16_10:
	s_or_b64 exec, exec, s[6:7]
	s_waitcnt lgkmcnt(0)
	s_barrier
	s_and_saveexec_b64 s[16:17], vcc
	s_cbranch_execz .LBB16_18
; %bb.11:
	s_lshl_b64 s[6:7], s[20:21], 4
	s_add_u32 s20, s4, s6
	s_addc_u32 s21, s5, s7
	v_mov_b64_e32 v[2:3], s[20:21]
	flat_load_dwordx2 v[6:7], v[2:3] offset:8
	s_load_dwordx4 s[4:7], s[0:1], 0x58
	v_mov_b32_e32 v4, 0
	ds_read_b64 v[10:11], v4
	s_mov_b64 s[26:27], 0
	s_waitcnt lgkmcnt(0)
	s_mul_i32 s1, s7, s22
	s_mul_hi_u32 s7, s6, s22
	s_mul_i32 s0, s6, s22
	s_add_i32 s1, s7, s1
	s_lshl_b64 s[0:1], s[0:1], 4
	s_add_u32 s22, s4, s0
	s_addc_u32 s23, s5, s1
	v_max_f64 v[2:3], v[10:11], v[10:11]
	s_cmp_eq_u64 s[18:19], 0
	s_cselect_b64 s[4:5], -1, 0
	s_cmp_lg_u64 s[18:19], 0
	s_cselect_b64 s[0:1], -1, 0
	s_mov_b64 s[6:7], 0
	s_waitcnt vmcnt(0)
	v_mul_f64 v[8:9], v[6:7], v[6:7]
	v_max_f64 v[2:3], v[2:3], v[8:9]
	v_cmp_nlt_f64_e32 vcc, 0, v[2:3]
                                        ; implicit-def: $vgpr2_vgpr3
	s_and_saveexec_b64 s[24:25], vcc
	s_xor_b64 s[24:25], exec, s[24:25]
	s_cbranch_execz .LBB16_14
; %bb.12:
	v_mov_b32_e32 v5, 0x3ff00000
	v_mov_b32_e32 v6, v4
	v_mov_b32_e32 v7, v4
	ds_write_b128 v4, v[4:7]
	v_mov_b32_e32 v5, v4
	s_and_b64 vcc, exec, s[0:1]
	global_store_dwordx4 v4, v[4:7], s[22:23]
	s_cbranch_vccz .LBB16_22
; %bb.13:
	v_mov_b64_e32 v[2:3], s[20:21]
	flat_load_dwordx2 v[2:3], v[2:3]
	s_mov_b64 s[6:7], -1
	s_and_b64 s[6:7], s[6:7], exec
                                        ; implicit-def: $vgpr8_vgpr9
                                        ; implicit-def: $vgpr10_vgpr11
                                        ; implicit-def: $vgpr6_vgpr7
	s_andn2_saveexec_b64 s[24:25], s[24:25]
	s_cbranch_execz .LBB16_23
	s_branch .LBB16_15
.LBB16_14:
	s_andn2_saveexec_b64 s[24:25], s[24:25]
	s_cbranch_execz .LBB16_23
.LBB16_15:
	s_waitcnt vmcnt(0) lgkmcnt(0)
	v_mov_b64_e32 v[2:3], s[20:21]
	flat_load_dwordx2 v[4:5], v[2:3]
	s_mov_b32 s28, 0
	s_brev_b32 s29, 8
	v_mov_b32_e32 v12, 0x100
	v_mov_b32_e32 v13, 0xffffff80
	v_mov_b32_e32 v16, 0x260
	s_and_b64 s[30:31], s[0:1], exec
	s_and_b64 s[26:27], s[4:5], exec
	v_mov_b32_e32 v42, 0
	s_waitcnt vmcnt(0) lgkmcnt(0)
	v_fma_f64 v[2:3], v[4:5], v[4:5], v[8:9]
	v_add_f64 v[2:3], v[10:11], v[2:3]
	v_cmp_gt_f64_e32 vcc, s[28:29], v[2:3]
	s_andn2_b64 s[28:29], s[6:7], exec
	s_nop 0
	v_cndmask_b32_e32 v10, 0, v12, vcc
	v_ldexp_f64 v[2:3], v[2:3], v10
	v_rsq_f64_e32 v[10:11], v[2:3]
	v_cndmask_b32_e32 v17, 0, v13, vcc
	v_cmp_class_f64_e32 vcc, v[2:3], v16
	v_mul_f64 v[12:13], v[2:3], v[10:11]
	v_mul_f64 v[10:11], v[10:11], 0.5
	v_fma_f64 v[14:15], -v[10:11], v[12:13], 0.5
	v_fmac_f64_e32 v[12:13], v[12:13], v[14:15]
	v_fmac_f64_e32 v[10:11], v[10:11], v[14:15]
	v_fma_f64 v[14:15], -v[12:13], v[12:13], v[2:3]
	v_fmac_f64_e32 v[12:13], v[14:15], v[10:11]
	v_fma_f64 v[14:15], -v[12:13], v[12:13], v[2:3]
	v_fmac_f64_e32 v[12:13], v[14:15], v[10:11]
	v_ldexp_f64 v[10:11], v[12:13], v17
	v_cndmask_b32_e32 v3, v11, v3, vcc
	v_cndmask_b32_e32 v2, v10, v2, vcc
	v_xor_b32_e32 v10, 0x80000000, v3
	v_cmp_le_f64_e32 vcc, 0, v[4:5]
	s_nop 1
	v_cndmask_b32_e32 v3, v3, v10, vcc
	v_add_f64 v[10:11], v[4:5], -v[2:3]
	v_add_f64 v[4:5], v[2:3], -v[4:5]
	v_div_scale_f64 v[12:13], s[0:1], v[2:3], v[2:3], -v[6:7]
	v_fmac_f64_e32 v[8:9], v[10:11], v[10:11]
	v_div_scale_f64 v[16:17], s[4:5], v[2:3], v[2:3], v[4:5]
	v_rcp_f64_e32 v[20:21], v[12:13]
	v_div_scale_f64 v[22:23], s[6:7], v[8:9], v[8:9], v[10:11]
	v_div_scale_f64 v[26:27], s[6:7], v[8:9], v[8:9], -v[6:7]
	v_rcp_f64_e32 v[30:31], v[16:17]
	v_rcp_f64_e32 v[32:33], v[22:23]
	;; [unrolled: 1-line block ×3, first 2 shown]
	v_fma_f64 v[36:37], -v[12:13], v[20:21], 1.0
	v_fma_f64 v[38:39], -v[16:17], v[30:31], 1.0
	v_fmac_f64_e32 v[20:21], v[20:21], v[36:37]
	v_fma_f64 v[36:37], -v[22:23], v[32:33], 1.0
	v_fma_f64 v[40:41], -v[26:27], v[34:35], 1.0
	v_fmac_f64_e32 v[30:31], v[30:31], v[38:39]
	v_fma_f64 v[38:39], -v[12:13], v[20:21], 1.0
	v_fmac_f64_e32 v[32:33], v[32:33], v[36:37]
	v_div_scale_f64 v[14:15], s[0:1], -v[6:7], v[2:3], -v[6:7]
	v_fmac_f64_e32 v[34:35], v[34:35], v[40:41]
	v_fma_f64 v[36:37], -v[16:17], v[30:31], 1.0
	v_fmac_f64_e32 v[20:21], v[20:21], v[38:39]
	v_fma_f64 v[38:39], -v[22:23], v[32:33], 1.0
	v_div_scale_f64 v[18:19], s[4:5], v[4:5], v[2:3], v[4:5]
	v_div_scale_f64 v[24:25], vcc, v[10:11], v[8:9], v[10:11]
	v_fma_f64 v[40:41], -v[26:27], v[34:35], 1.0
	v_fmac_f64_e32 v[30:31], v[30:31], v[36:37]
	v_mul_f64 v[36:37], v[14:15], v[20:21]
	v_fmac_f64_e32 v[32:33], v[32:33], v[38:39]
	v_div_scale_f64 v[28:29], s[6:7], -v[6:7], v[8:9], -v[6:7]
	v_fmac_f64_e32 v[34:35], v[34:35], v[40:41]
	v_mul_f64 v[38:39], v[18:19], v[30:31]
	v_fma_f64 v[14:15], -v[12:13], v[36:37], v[14:15]
	v_mul_f64 v[12:13], v[24:25], v[32:33]
	v_mul_f64 v[40:41], v[28:29], v[34:35]
	v_fma_f64 v[16:17], -v[16:17], v[38:39], v[18:19]
	v_fma_f64 v[18:19], -v[22:23], v[12:13], v[24:25]
	;; [unrolled: 1-line block ×3, first 2 shown]
	v_div_fmas_f64 v[12:13], v[18:19], v[32:33], v[12:13]
	s_mov_b64 vcc, s[6:7]
	v_div_fixup_f64 v[10:11], v[12:13], v[8:9], v[10:11]
	v_div_fmas_f64 v[12:13], v[22:23], v[34:35], v[40:41]
	s_mov_b64 vcc, s[4:5]
	v_div_fixup_f64 v[12:13], v[12:13], v[8:9], -v[6:7]
	v_div_fmas_f64 v[8:9], v[16:17], v[30:31], v[38:39]
	s_mov_b64 vcc, s[0:1]
	v_div_fixup_f64 v[4:5], v[8:9], v[2:3], v[4:5]
	v_div_fmas_f64 v[8:9], v[14:15], v[20:21], v[36:37]
	v_div_fixup_f64 v[6:7], v[8:9], v[2:3], -v[6:7]
	ds_write_b128 v42, v[10:13]
	global_store_dwordx4 v42, v[4:7], s[22:23]
	s_or_b64 s[6:7], s[28:29], s[30:31]
	s_or_b64 exec, exec, s[24:25]
	s_and_saveexec_b64 s[0:1], s[6:7]
	s_cbranch_execnz .LBB16_24
.LBB16_16:
	s_or_b64 exec, exec, s[0:1]
	s_and_b64 exec, exec, s[26:27]
	s_cbranch_execz .LBB16_18
.LBB16_17:
	v_mov_b32_e32 v4, 0
	v_mov_b32_e32 v5, v4
	v_mov_b64_e32 v[6:7], s[20:21]
	s_waitcnt vmcnt(0) lgkmcnt(0)
	flat_store_dwordx4 v[6:7], v[2:5]
.LBB16_18:
	s_or_b64 exec, exec, s[16:17]
	s_waitcnt lgkmcnt(0)
	s_barrier
	s_and_saveexec_b64 s[0:1], s[2:3]
	s_cbranch_execz .LBB16_21
; %bb.19:
	v_mad_u64_u32 v[6:7], s[0:1], s14, v0, 0
	s_waitcnt vmcnt(0)
	v_mov_b32_e32 v2, 0
	v_mov_b32_e32 v8, v7
	ds_read_b128 v[2:5], v2
	v_mad_u64_u32 v[8:9], s[0:1], s15, v0, v[8:9]
	s_lshl_b64 s[0:1], s[12:13], 4
	s_add_u32 s0, s10, s0
	v_mov_b32_e32 v7, v8
	s_addc_u32 s1, s11, s1
	v_lshl_add_u64 v[6:7], v[6:7], 4, s[0:1]
	s_lshl_b64 s[0:1], s[14:15], 11
	s_mov_b64 s[2:3], 0
	s_mov_b64 s[4:5], 0x80
.LBB16_20:                              ; =>This Inner Loop Header: Depth=1
	flat_load_dwordx4 v[8:11], v[6:7]
	v_lshl_add_u64 v[0:1], v[0:1], 0, s[4:5]
	v_cmp_le_i64_e32 vcc, s[8:9], v[0:1]
	s_or_b64 s[2:3], vcc, s[2:3]
	s_waitcnt vmcnt(0) lgkmcnt(0)
	v_mul_f64 v[14:15], v[4:5], v[10:11]
	v_mul_f64 v[12:13], v[2:3], v[10:11]
	v_fma_f64 v[10:11], v[2:3], v[8:9], -v[14:15]
	v_fmac_f64_e32 v[12:13], v[4:5], v[8:9]
	flat_store_dwordx4 v[6:7], v[10:13]
	v_lshl_add_u64 v[6:7], v[6:7], 0, s[0:1]
	s_andn2_b64 exec, exec, s[2:3]
	s_cbranch_execnz .LBB16_20
.LBB16_21:
	s_endpgm
.LBB16_22:
                                        ; implicit-def: $vgpr2_vgpr3
	s_and_b64 s[6:7], s[6:7], exec
                                        ; implicit-def: $vgpr8_vgpr9
                                        ; implicit-def: $vgpr10_vgpr11
                                        ; implicit-def: $vgpr6_vgpr7
	s_andn2_saveexec_b64 s[24:25], s[24:25]
	s_cbranch_execnz .LBB16_15
.LBB16_23:
	s_or_b64 exec, exec, s[24:25]
	s_and_saveexec_b64 s[0:1], s[6:7]
	s_cbranch_execz .LBB16_16
.LBB16_24:
	v_mov_b32_e32 v4, 0
	s_waitcnt vmcnt(0) lgkmcnt(0)
	global_store_dwordx2 v4, v[2:3], s[18:19]
	v_mov_b64_e32 v[2:3], 1.0
	s_or_b64 s[26:27], s[26:27], exec
	s_or_b64 exec, exec, s[0:1]
	s_and_b64 exec, exec, s[26:27]
	s_cbranch_execnz .LBB16_17
	s_branch .LBB16_18
	.section	.rodata,"a",@progbits
	.p2align	6, 0x0
	.amdhsa_kernel _ZN9rocsolver6v33100L18larfg_kernel_smallILi128E19rocblas_complex_numIdEldPKPS3_EEvT1_T3_llPT2_llS8_lS7_lPT0_l
		.amdhsa_group_segment_fixed_size 32
		.amdhsa_private_segment_fixed_size 0
		.amdhsa_kernarg_size 104
		.amdhsa_user_sgpr_count 2
		.amdhsa_user_sgpr_dispatch_ptr 0
		.amdhsa_user_sgpr_queue_ptr 0
		.amdhsa_user_sgpr_kernarg_segment_ptr 1
		.amdhsa_user_sgpr_dispatch_id 0
		.amdhsa_user_sgpr_kernarg_preload_length 0
		.amdhsa_user_sgpr_kernarg_preload_offset 0
		.amdhsa_user_sgpr_private_segment_size 0
		.amdhsa_uses_dynamic_stack 0
		.amdhsa_enable_private_segment 0
		.amdhsa_system_sgpr_workgroup_id_x 1
		.amdhsa_system_sgpr_workgroup_id_y 0
		.amdhsa_system_sgpr_workgroup_id_z 1
		.amdhsa_system_sgpr_workgroup_info 0
		.amdhsa_system_vgpr_workitem_id 0
		.amdhsa_next_free_vgpr 43
		.amdhsa_next_free_sgpr 32
		.amdhsa_accum_offset 44
		.amdhsa_reserve_vcc 1
		.amdhsa_float_round_mode_32 0
		.amdhsa_float_round_mode_16_64 0
		.amdhsa_float_denorm_mode_32 3
		.amdhsa_float_denorm_mode_16_64 3
		.amdhsa_dx10_clamp 1
		.amdhsa_ieee_mode 1
		.amdhsa_fp16_overflow 0
		.amdhsa_tg_split 0
		.amdhsa_exception_fp_ieee_invalid_op 0
		.amdhsa_exception_fp_denorm_src 0
		.amdhsa_exception_fp_ieee_div_zero 0
		.amdhsa_exception_fp_ieee_overflow 0
		.amdhsa_exception_fp_ieee_underflow 0
		.amdhsa_exception_fp_ieee_inexact 0
		.amdhsa_exception_int_div_zero 0
	.end_amdhsa_kernel
	.section	.text._ZN9rocsolver6v33100L18larfg_kernel_smallILi128E19rocblas_complex_numIdEldPKPS3_EEvT1_T3_llPT2_llS8_lS7_lPT0_l,"axG",@progbits,_ZN9rocsolver6v33100L18larfg_kernel_smallILi128E19rocblas_complex_numIdEldPKPS3_EEvT1_T3_llPT2_llS8_lS7_lPT0_l,comdat
.Lfunc_end16:
	.size	_ZN9rocsolver6v33100L18larfg_kernel_smallILi128E19rocblas_complex_numIdEldPKPS3_EEvT1_T3_llPT2_llS8_lS7_lPT0_l, .Lfunc_end16-_ZN9rocsolver6v33100L18larfg_kernel_smallILi128E19rocblas_complex_numIdEldPKPS3_EEvT1_T3_llPT2_llS8_lS7_lPT0_l
                                        ; -- End function
	.set _ZN9rocsolver6v33100L18larfg_kernel_smallILi128E19rocblas_complex_numIdEldPKPS3_EEvT1_T3_llPT2_llS8_lS7_lPT0_l.num_vgpr, 43
	.set _ZN9rocsolver6v33100L18larfg_kernel_smallILi128E19rocblas_complex_numIdEldPKPS3_EEvT1_T3_llPT2_llS8_lS7_lPT0_l.num_agpr, 0
	.set _ZN9rocsolver6v33100L18larfg_kernel_smallILi128E19rocblas_complex_numIdEldPKPS3_EEvT1_T3_llPT2_llS8_lS7_lPT0_l.numbered_sgpr, 32
	.set _ZN9rocsolver6v33100L18larfg_kernel_smallILi128E19rocblas_complex_numIdEldPKPS3_EEvT1_T3_llPT2_llS8_lS7_lPT0_l.num_named_barrier, 0
	.set _ZN9rocsolver6v33100L18larfg_kernel_smallILi128E19rocblas_complex_numIdEldPKPS3_EEvT1_T3_llPT2_llS8_lS7_lPT0_l.private_seg_size, 0
	.set _ZN9rocsolver6v33100L18larfg_kernel_smallILi128E19rocblas_complex_numIdEldPKPS3_EEvT1_T3_llPT2_llS8_lS7_lPT0_l.uses_vcc, 1
	.set _ZN9rocsolver6v33100L18larfg_kernel_smallILi128E19rocblas_complex_numIdEldPKPS3_EEvT1_T3_llPT2_llS8_lS7_lPT0_l.uses_flat_scratch, 0
	.set _ZN9rocsolver6v33100L18larfg_kernel_smallILi128E19rocblas_complex_numIdEldPKPS3_EEvT1_T3_llPT2_llS8_lS7_lPT0_l.has_dyn_sized_stack, 0
	.set _ZN9rocsolver6v33100L18larfg_kernel_smallILi128E19rocblas_complex_numIdEldPKPS3_EEvT1_T3_llPT2_llS8_lS7_lPT0_l.has_recursion, 0
	.set _ZN9rocsolver6v33100L18larfg_kernel_smallILi128E19rocblas_complex_numIdEldPKPS3_EEvT1_T3_llPT2_llS8_lS7_lPT0_l.has_indirect_call, 0
	.section	.AMDGPU.csdata,"",@progbits
; Kernel info:
; codeLenInByte = 1996
; TotalNumSgprs: 38
; NumVgprs: 43
; NumAgprs: 0
; TotalNumVgprs: 43
; ScratchSize: 0
; MemoryBound: 0
; FloatMode: 240
; IeeeMode: 1
; LDSByteSize: 32 bytes/workgroup (compile time only)
; SGPRBlocks: 4
; VGPRBlocks: 5
; NumSGPRsForWavesPerEU: 38
; NumVGPRsForWavesPerEU: 43
; AccumOffset: 44
; Occupancy: 8
; WaveLimiterHint : 1
; COMPUTE_PGM_RSRC2:SCRATCH_EN: 0
; COMPUTE_PGM_RSRC2:USER_SGPR: 2
; COMPUTE_PGM_RSRC2:TRAP_HANDLER: 0
; COMPUTE_PGM_RSRC2:TGID_X_EN: 1
; COMPUTE_PGM_RSRC2:TGID_Y_EN: 0
; COMPUTE_PGM_RSRC2:TGID_Z_EN: 1
; COMPUTE_PGM_RSRC2:TIDIG_COMP_CNT: 0
; COMPUTE_PGM_RSRC3_GFX90A:ACCUM_OFFSET: 10
; COMPUTE_PGM_RSRC3_GFX90A:TG_SPLIT: 0
	.section	.text._ZN9rocsolver6v33100L18larfg_kernel_smallILi256E19rocblas_complex_numIdEldPKPS3_EEvT1_T3_llPT2_llS8_lS7_lPT0_l,"axG",@progbits,_ZN9rocsolver6v33100L18larfg_kernel_smallILi256E19rocblas_complex_numIdEldPKPS3_EEvT1_T3_llPT2_llS8_lS7_lPT0_l,comdat
	.globl	_ZN9rocsolver6v33100L18larfg_kernel_smallILi256E19rocblas_complex_numIdEldPKPS3_EEvT1_T3_llPT2_llS8_lS7_lPT0_l ; -- Begin function _ZN9rocsolver6v33100L18larfg_kernel_smallILi256E19rocblas_complex_numIdEldPKPS3_EEvT1_T3_llPT2_llS8_lS7_lPT0_l
	.p2align	8
	.type	_ZN9rocsolver6v33100L18larfg_kernel_smallILi256E19rocblas_complex_numIdEldPKPS3_EEvT1_T3_llPT2_llS8_lS7_lPT0_l,@function
_ZN9rocsolver6v33100L18larfg_kernel_smallILi256E19rocblas_complex_numIdEldPKPS3_EEvT1_T3_llPT2_llS8_lS7_lPT0_l: ; @_ZN9rocsolver6v33100L18larfg_kernel_smallILi256E19rocblas_complex_numIdEldPKPS3_EEvT1_T3_llPT2_llS8_lS7_lPT0_l
; %bb.0:
	s_mov_b32 s22, s3
	s_load_dwordx4 s[16:19], s[0:1], 0x0
	s_load_dwordx2 s[20:21], s[0:1], 0x10
	s_load_dwordx8 s[4:11], s[0:1], 0x20
	s_load_dwordx4 s[12:15], s[0:1], 0x40
	s_mov_b32 s23, 0
	s_lshl_b64 s[24:25], s[22:23], 3
	s_waitcnt lgkmcnt(0)
	s_add_u32 s2, s18, s24
	s_addc_u32 s3, s19, s25
	s_add_u32 s10, s10, s24
	s_addc_u32 s11, s11, s25
	s_load_dwordx2 s[10:11], s[10:11], 0x0
	s_cmp_eq_u64 s[4:5], 0
	s_mov_b64 s[18:19], 0
	s_cbranch_scc1 .LBB17_2
; %bb.1:
	s_mul_i32 s9, s9, s22
	s_mul_hi_u32 s18, s8, s22
	s_add_i32 s9, s18, s9
	s_mul_i32 s8, s8, s22
	s_lshl_b64 s[8:9], s[8:9], 3
	s_add_u32 s8, s4, s8
	s_addc_u32 s9, s5, s9
	s_lshl_b64 s[4:5], s[6:7], 3
	s_add_u32 s18, s8, s4
	s_addc_u32 s19, s9, s5
.LBB17_2:
	s_load_dwordx2 s[4:5], s[2:3], 0x0
	s_add_u32 s8, s16, -1
	v_mov_b32_e32 v1, 0
	s_addc_u32 s9, s17, -1
	v_cmp_gt_i64_e64 s[2:3], s[8:9], v[0:1]
	v_mov_b64_e32 v[2:3], 0
	v_mov_b64_e32 v[4:5], 0
	s_and_saveexec_b64 s[6:7], s[2:3]
	s_cbranch_execz .LBB17_6
; %bb.3:
	v_mad_u64_u32 v[2:3], s[16:17], s14, v0, 0
	v_mov_b32_e32 v4, v3
	v_mad_u64_u32 v[4:5], s[16:17], s15, v0, v[4:5]
	s_lshl_b64 s[16:17], s[12:13], 4
	s_waitcnt lgkmcnt(0)
	s_add_u32 s16, s10, s16
	v_mov_b32_e32 v3, v4
	s_addc_u32 s17, s11, s17
	v_lshl_add_u64 v[6:7], v[2:3], 4, s[16:17]
	s_lshl_b64 s[16:17], s[14:15], 12
	v_mov_b64_e32 v[2:3], 0
	s_mov_b64 s[24:25], 0
	s_mov_b64 s[26:27], 0x100
	v_mov_b64_e32 v[8:9], v[0:1]
	v_mov_b64_e32 v[4:5], 0
.LBB17_4:                               ; =>This Inner Loop Header: Depth=1
	flat_load_dwordx4 v[10:13], v[6:7]
	v_lshl_add_u64 v[8:9], v[8:9], 0, s[26:27]
	v_cmp_le_i64_e32 vcc, s[8:9], v[8:9]
	v_lshl_add_u64 v[6:7], v[6:7], 0, s[16:17]
	s_or_b64 s[24:25], vcc, s[24:25]
	s_waitcnt vmcnt(0) lgkmcnt(0)
	v_mul_f64 v[14:15], v[12:13], v[12:13]
	v_mul_f64 v[16:17], v[10:11], v[12:13]
	v_fmac_f64_e32 v[14:15], v[10:11], v[10:11]
	v_fma_f64 v[10:11], v[10:11], v[12:13], -v[16:17]
	v_add_f64 v[4:5], v[4:5], v[14:15]
	v_add_f64 v[2:3], v[2:3], v[10:11]
	s_andn2_b64 exec, exec, s[24:25]
	s_cbranch_execnz .LBB17_4
; %bb.5:
	s_or_b64 exec, exec, s[24:25]
.LBB17_6:
	s_or_b64 exec, exec, s[6:7]
	v_mbcnt_lo_u32_b32 v6, -1, 0
	v_mbcnt_hi_u32_b32 v10, -1, v6
	v_and_b32_e32 v11, 63, v10
	v_cmp_ne_u32_e32 vcc, 63, v11
	s_nop 1
	v_addc_co_u32_e32 v6, vcc, 0, v10, vcc
	v_lshlrev_b32_e32 v9, 2, v6
	ds_bpermute_b32 v6, v9, v4
	ds_bpermute_b32 v7, v9, v5
	;; [unrolled: 1-line block ×4, first 2 shown]
	v_cmp_gt_u32_e32 vcc, 62, v11
	s_waitcnt lgkmcnt(0)
	v_add_f64 v[4:5], v[4:5], v[6:7]
	v_cndmask_b32_e64 v6, 0, 2, vcc
	v_add_f64 v[2:3], v[2:3], v[8:9]
	v_add_lshl_u32 v9, v6, v10, 2
	ds_bpermute_b32 v6, v9, v4
	ds_bpermute_b32 v7, v9, v5
	ds_bpermute_b32 v8, v9, v2
	ds_bpermute_b32 v9, v9, v3
	v_cmp_gt_u32_e32 vcc, 60, v11
	s_waitcnt lgkmcnt(2)
	v_add_f64 v[4:5], v[4:5], v[6:7]
	v_cndmask_b32_e64 v6, 0, 4, vcc
	s_waitcnt lgkmcnt(0)
	v_add_f64 v[2:3], v[2:3], v[8:9]
	v_add_lshl_u32 v9, v6, v10, 2
	ds_bpermute_b32 v6, v9, v4
	ds_bpermute_b32 v7, v9, v5
	ds_bpermute_b32 v8, v9, v2
	ds_bpermute_b32 v9, v9, v3
	v_cmp_gt_u32_e32 vcc, 56, v11
	s_waitcnt lgkmcnt(2)
	v_add_f64 v[4:5], v[4:5], v[6:7]
	v_cndmask_b32_e64 v6, 0, 8, vcc
	s_waitcnt lgkmcnt(0)
	;; [unrolled: 11-line block ×3, first 2 shown]
	v_add_f64 v[2:3], v[2:3], v[8:9]
	v_add_lshl_u32 v9, v6, v10, 2
	ds_bpermute_b32 v6, v9, v4
	ds_bpermute_b32 v7, v9, v5
	;; [unrolled: 1-line block ×4, first 2 shown]
	s_waitcnt lgkmcnt(2)
	v_add_f64 v[4:5], v[4:5], v[6:7]
	s_waitcnt lgkmcnt(0)
	v_add_f64 v[6:7], v[2:3], v[8:9]
	v_mov_b32_e32 v2, 0x80
	v_lshl_or_b32 v9, v10, 2, v2
	ds_bpermute_b32 v2, v9, v4
	ds_bpermute_b32 v3, v9, v5
	;; [unrolled: 1-line block ×4, first 2 shown]
	s_waitcnt lgkmcnt(2)
	v_add_f64 v[2:3], v[4:5], v[2:3]
	s_waitcnt lgkmcnt(0)
	v_add_f64 v[4:5], v[6:7], v[8:9]
	v_and_b32_e32 v6, 63, v0
	v_cmp_eq_u32_e32 vcc, 0, v6
	s_and_saveexec_b64 s[6:7], vcc
; %bb.7:
	v_lshrrev_b32_e32 v6, 2, v0
	ds_write_b128 v6, v[2:5]
; %bb.8:
	s_or_b64 exec, exec, s[6:7]
	v_cmp_eq_u32_e32 vcc, 0, v0
	s_waitcnt lgkmcnt(0)
	s_barrier
	s_and_saveexec_b64 s[6:7], vcc
	s_cbranch_execz .LBB17_10
; %bb.9:
	v_mov_b32_e32 v18, 0
	ds_read_b128 v[6:9], v18 offset:16
	ds_read_b128 v[10:13], v18 offset:32
	ds_read_b128 v[14:17], v18 offset:48
	s_waitcnt lgkmcnt(2)
	v_add_f64 v[2:3], v[2:3], v[6:7]
	v_add_f64 v[4:5], v[4:5], v[8:9]
	s_waitcnt lgkmcnt(1)
	v_add_f64 v[2:3], v[2:3], v[10:11]
	v_add_f64 v[4:5], v[4:5], v[12:13]
	;; [unrolled: 3-line block ×3, first 2 shown]
	ds_write_b128 v18, v[2:5]
.LBB17_10:
	s_or_b64 exec, exec, s[6:7]
	s_waitcnt lgkmcnt(0)
	s_barrier
	s_and_saveexec_b64 s[16:17], vcc
	s_cbranch_execz .LBB17_18
; %bb.11:
	s_lshl_b64 s[6:7], s[20:21], 4
	s_add_u32 s20, s4, s6
	s_addc_u32 s21, s5, s7
	v_mov_b64_e32 v[2:3], s[20:21]
	flat_load_dwordx2 v[6:7], v[2:3] offset:8
	s_load_dwordx4 s[4:7], s[0:1], 0x58
	v_mov_b32_e32 v4, 0
	ds_read_b64 v[10:11], v4
	s_mov_b64 s[26:27], 0
	s_waitcnt lgkmcnt(0)
	s_mul_i32 s1, s7, s22
	s_mul_hi_u32 s7, s6, s22
	s_mul_i32 s0, s6, s22
	s_add_i32 s1, s7, s1
	s_lshl_b64 s[0:1], s[0:1], 4
	s_add_u32 s22, s4, s0
	s_addc_u32 s23, s5, s1
	v_max_f64 v[2:3], v[10:11], v[10:11]
	s_cmp_eq_u64 s[18:19], 0
	s_cselect_b64 s[4:5], -1, 0
	s_cmp_lg_u64 s[18:19], 0
	s_cselect_b64 s[0:1], -1, 0
	s_mov_b64 s[6:7], 0
	s_waitcnt vmcnt(0)
	v_mul_f64 v[8:9], v[6:7], v[6:7]
	v_max_f64 v[2:3], v[2:3], v[8:9]
	v_cmp_nlt_f64_e32 vcc, 0, v[2:3]
                                        ; implicit-def: $vgpr2_vgpr3
	s_and_saveexec_b64 s[24:25], vcc
	s_xor_b64 s[24:25], exec, s[24:25]
	s_cbranch_execz .LBB17_14
; %bb.12:
	v_mov_b32_e32 v5, 0x3ff00000
	v_mov_b32_e32 v6, v4
	;; [unrolled: 1-line block ×3, first 2 shown]
	ds_write_b128 v4, v[4:7]
	v_mov_b32_e32 v5, v4
	s_and_b64 vcc, exec, s[0:1]
	global_store_dwordx4 v4, v[4:7], s[22:23]
	s_cbranch_vccz .LBB17_22
; %bb.13:
	v_mov_b64_e32 v[2:3], s[20:21]
	flat_load_dwordx2 v[2:3], v[2:3]
	s_mov_b64 s[6:7], -1
	s_and_b64 s[6:7], s[6:7], exec
                                        ; implicit-def: $vgpr8_vgpr9
                                        ; implicit-def: $vgpr10_vgpr11
                                        ; implicit-def: $vgpr6_vgpr7
	s_andn2_saveexec_b64 s[24:25], s[24:25]
	s_cbranch_execz .LBB17_23
	s_branch .LBB17_15
.LBB17_14:
	s_andn2_saveexec_b64 s[24:25], s[24:25]
	s_cbranch_execz .LBB17_23
.LBB17_15:
	s_waitcnt vmcnt(0) lgkmcnt(0)
	v_mov_b64_e32 v[2:3], s[20:21]
	flat_load_dwordx2 v[4:5], v[2:3]
	s_mov_b32 s28, 0
	s_brev_b32 s29, 8
	v_mov_b32_e32 v12, 0x100
	v_mov_b32_e32 v13, 0xffffff80
	v_mov_b32_e32 v16, 0x260
	s_and_b64 s[30:31], s[0:1], exec
	s_and_b64 s[26:27], s[4:5], exec
	v_mov_b32_e32 v42, 0
	s_waitcnt vmcnt(0) lgkmcnt(0)
	v_fma_f64 v[2:3], v[4:5], v[4:5], v[8:9]
	v_add_f64 v[2:3], v[10:11], v[2:3]
	v_cmp_gt_f64_e32 vcc, s[28:29], v[2:3]
	s_andn2_b64 s[28:29], s[6:7], exec
	s_nop 0
	v_cndmask_b32_e32 v10, 0, v12, vcc
	v_ldexp_f64 v[2:3], v[2:3], v10
	v_rsq_f64_e32 v[10:11], v[2:3]
	v_cndmask_b32_e32 v17, 0, v13, vcc
	v_cmp_class_f64_e32 vcc, v[2:3], v16
	v_mul_f64 v[12:13], v[2:3], v[10:11]
	v_mul_f64 v[10:11], v[10:11], 0.5
	v_fma_f64 v[14:15], -v[10:11], v[12:13], 0.5
	v_fmac_f64_e32 v[12:13], v[12:13], v[14:15]
	v_fmac_f64_e32 v[10:11], v[10:11], v[14:15]
	v_fma_f64 v[14:15], -v[12:13], v[12:13], v[2:3]
	v_fmac_f64_e32 v[12:13], v[14:15], v[10:11]
	v_fma_f64 v[14:15], -v[12:13], v[12:13], v[2:3]
	v_fmac_f64_e32 v[12:13], v[14:15], v[10:11]
	v_ldexp_f64 v[10:11], v[12:13], v17
	v_cndmask_b32_e32 v3, v11, v3, vcc
	v_cndmask_b32_e32 v2, v10, v2, vcc
	v_xor_b32_e32 v10, 0x80000000, v3
	v_cmp_le_f64_e32 vcc, 0, v[4:5]
	s_nop 1
	v_cndmask_b32_e32 v3, v3, v10, vcc
	v_add_f64 v[10:11], v[4:5], -v[2:3]
	v_add_f64 v[4:5], v[2:3], -v[4:5]
	v_div_scale_f64 v[12:13], s[0:1], v[2:3], v[2:3], -v[6:7]
	v_fmac_f64_e32 v[8:9], v[10:11], v[10:11]
	v_div_scale_f64 v[16:17], s[4:5], v[2:3], v[2:3], v[4:5]
	v_rcp_f64_e32 v[20:21], v[12:13]
	v_div_scale_f64 v[22:23], s[6:7], v[8:9], v[8:9], v[10:11]
	v_div_scale_f64 v[26:27], s[6:7], v[8:9], v[8:9], -v[6:7]
	v_rcp_f64_e32 v[30:31], v[16:17]
	v_rcp_f64_e32 v[32:33], v[22:23]
	;; [unrolled: 1-line block ×3, first 2 shown]
	v_fma_f64 v[36:37], -v[12:13], v[20:21], 1.0
	v_fma_f64 v[38:39], -v[16:17], v[30:31], 1.0
	v_fmac_f64_e32 v[20:21], v[20:21], v[36:37]
	v_fma_f64 v[36:37], -v[22:23], v[32:33], 1.0
	v_fma_f64 v[40:41], -v[26:27], v[34:35], 1.0
	v_fmac_f64_e32 v[30:31], v[30:31], v[38:39]
	v_fma_f64 v[38:39], -v[12:13], v[20:21], 1.0
	v_fmac_f64_e32 v[32:33], v[32:33], v[36:37]
	v_div_scale_f64 v[14:15], s[0:1], -v[6:7], v[2:3], -v[6:7]
	v_fmac_f64_e32 v[34:35], v[34:35], v[40:41]
	v_fma_f64 v[36:37], -v[16:17], v[30:31], 1.0
	v_fmac_f64_e32 v[20:21], v[20:21], v[38:39]
	v_fma_f64 v[38:39], -v[22:23], v[32:33], 1.0
	v_div_scale_f64 v[18:19], s[4:5], v[4:5], v[2:3], v[4:5]
	v_div_scale_f64 v[24:25], vcc, v[10:11], v[8:9], v[10:11]
	v_fma_f64 v[40:41], -v[26:27], v[34:35], 1.0
	v_fmac_f64_e32 v[30:31], v[30:31], v[36:37]
	v_mul_f64 v[36:37], v[14:15], v[20:21]
	v_fmac_f64_e32 v[32:33], v[32:33], v[38:39]
	v_div_scale_f64 v[28:29], s[6:7], -v[6:7], v[8:9], -v[6:7]
	v_fmac_f64_e32 v[34:35], v[34:35], v[40:41]
	v_mul_f64 v[38:39], v[18:19], v[30:31]
	v_fma_f64 v[14:15], -v[12:13], v[36:37], v[14:15]
	v_mul_f64 v[12:13], v[24:25], v[32:33]
	v_mul_f64 v[40:41], v[28:29], v[34:35]
	v_fma_f64 v[16:17], -v[16:17], v[38:39], v[18:19]
	v_fma_f64 v[18:19], -v[22:23], v[12:13], v[24:25]
	v_fma_f64 v[22:23], -v[26:27], v[40:41], v[28:29]
	v_div_fmas_f64 v[12:13], v[18:19], v[32:33], v[12:13]
	s_mov_b64 vcc, s[6:7]
	v_div_fixup_f64 v[10:11], v[12:13], v[8:9], v[10:11]
	v_div_fmas_f64 v[12:13], v[22:23], v[34:35], v[40:41]
	s_mov_b64 vcc, s[4:5]
	v_div_fixup_f64 v[12:13], v[12:13], v[8:9], -v[6:7]
	v_div_fmas_f64 v[8:9], v[16:17], v[30:31], v[38:39]
	s_mov_b64 vcc, s[0:1]
	v_div_fixup_f64 v[4:5], v[8:9], v[2:3], v[4:5]
	v_div_fmas_f64 v[8:9], v[14:15], v[20:21], v[36:37]
	v_div_fixup_f64 v[6:7], v[8:9], v[2:3], -v[6:7]
	ds_write_b128 v42, v[10:13]
	global_store_dwordx4 v42, v[4:7], s[22:23]
	s_or_b64 s[6:7], s[28:29], s[30:31]
	s_or_b64 exec, exec, s[24:25]
	s_and_saveexec_b64 s[0:1], s[6:7]
	s_cbranch_execnz .LBB17_24
.LBB17_16:
	s_or_b64 exec, exec, s[0:1]
	s_and_b64 exec, exec, s[26:27]
	s_cbranch_execz .LBB17_18
.LBB17_17:
	v_mov_b32_e32 v4, 0
	v_mov_b32_e32 v5, v4
	v_mov_b64_e32 v[6:7], s[20:21]
	s_waitcnt vmcnt(0) lgkmcnt(0)
	flat_store_dwordx4 v[6:7], v[2:5]
.LBB17_18:
	s_or_b64 exec, exec, s[16:17]
	s_waitcnt lgkmcnt(0)
	s_barrier
	s_and_saveexec_b64 s[0:1], s[2:3]
	s_cbranch_execz .LBB17_21
; %bb.19:
	v_mad_u64_u32 v[6:7], s[0:1], s14, v0, 0
	s_waitcnt vmcnt(0)
	v_mov_b32_e32 v2, 0
	v_mov_b32_e32 v8, v7
	ds_read_b128 v[2:5], v2
	v_mad_u64_u32 v[8:9], s[0:1], s15, v0, v[8:9]
	s_lshl_b64 s[0:1], s[12:13], 4
	s_add_u32 s0, s10, s0
	v_mov_b32_e32 v7, v8
	s_addc_u32 s1, s11, s1
	v_lshl_add_u64 v[6:7], v[6:7], 4, s[0:1]
	s_lshl_b64 s[0:1], s[14:15], 12
	s_mov_b64 s[2:3], 0
	s_mov_b64 s[4:5], 0x100
.LBB17_20:                              ; =>This Inner Loop Header: Depth=1
	flat_load_dwordx4 v[8:11], v[6:7]
	v_lshl_add_u64 v[0:1], v[0:1], 0, s[4:5]
	v_cmp_le_i64_e32 vcc, s[8:9], v[0:1]
	s_or_b64 s[2:3], vcc, s[2:3]
	s_waitcnt vmcnt(0) lgkmcnt(0)
	v_mul_f64 v[14:15], v[4:5], v[10:11]
	v_mul_f64 v[12:13], v[2:3], v[10:11]
	v_fma_f64 v[10:11], v[2:3], v[8:9], -v[14:15]
	v_fmac_f64_e32 v[12:13], v[4:5], v[8:9]
	flat_store_dwordx4 v[6:7], v[10:13]
	v_lshl_add_u64 v[6:7], v[6:7], 0, s[0:1]
	s_andn2_b64 exec, exec, s[2:3]
	s_cbranch_execnz .LBB17_20
.LBB17_21:
	s_endpgm
.LBB17_22:
                                        ; implicit-def: $vgpr2_vgpr3
	s_and_b64 s[6:7], s[6:7], exec
                                        ; implicit-def: $vgpr8_vgpr9
                                        ; implicit-def: $vgpr10_vgpr11
                                        ; implicit-def: $vgpr6_vgpr7
	s_andn2_saveexec_b64 s[24:25], s[24:25]
	s_cbranch_execnz .LBB17_15
.LBB17_23:
	s_or_b64 exec, exec, s[24:25]
	s_and_saveexec_b64 s[0:1], s[6:7]
	s_cbranch_execz .LBB17_16
.LBB17_24:
	v_mov_b32_e32 v4, 0
	s_waitcnt vmcnt(0) lgkmcnt(0)
	global_store_dwordx2 v4, v[2:3], s[18:19]
	v_mov_b64_e32 v[2:3], 1.0
	s_or_b64 s[26:27], s[26:27], exec
	s_or_b64 exec, exec, s[0:1]
	s_and_b64 exec, exec, s[26:27]
	s_cbranch_execnz .LBB17_17
	s_branch .LBB17_18
	.section	.rodata,"a",@progbits
	.p2align	6, 0x0
	.amdhsa_kernel _ZN9rocsolver6v33100L18larfg_kernel_smallILi256E19rocblas_complex_numIdEldPKPS3_EEvT1_T3_llPT2_llS8_lS7_lPT0_l
		.amdhsa_group_segment_fixed_size 64
		.amdhsa_private_segment_fixed_size 0
		.amdhsa_kernarg_size 104
		.amdhsa_user_sgpr_count 2
		.amdhsa_user_sgpr_dispatch_ptr 0
		.amdhsa_user_sgpr_queue_ptr 0
		.amdhsa_user_sgpr_kernarg_segment_ptr 1
		.amdhsa_user_sgpr_dispatch_id 0
		.amdhsa_user_sgpr_kernarg_preload_length 0
		.amdhsa_user_sgpr_kernarg_preload_offset 0
		.amdhsa_user_sgpr_private_segment_size 0
		.amdhsa_uses_dynamic_stack 0
		.amdhsa_enable_private_segment 0
		.amdhsa_system_sgpr_workgroup_id_x 1
		.amdhsa_system_sgpr_workgroup_id_y 0
		.amdhsa_system_sgpr_workgroup_id_z 1
		.amdhsa_system_sgpr_workgroup_info 0
		.amdhsa_system_vgpr_workitem_id 0
		.amdhsa_next_free_vgpr 43
		.amdhsa_next_free_sgpr 32
		.amdhsa_accum_offset 44
		.amdhsa_reserve_vcc 1
		.amdhsa_float_round_mode_32 0
		.amdhsa_float_round_mode_16_64 0
		.amdhsa_float_denorm_mode_32 3
		.amdhsa_float_denorm_mode_16_64 3
		.amdhsa_dx10_clamp 1
		.amdhsa_ieee_mode 1
		.amdhsa_fp16_overflow 0
		.amdhsa_tg_split 0
		.amdhsa_exception_fp_ieee_invalid_op 0
		.amdhsa_exception_fp_denorm_src 0
		.amdhsa_exception_fp_ieee_div_zero 0
		.amdhsa_exception_fp_ieee_overflow 0
		.amdhsa_exception_fp_ieee_underflow 0
		.amdhsa_exception_fp_ieee_inexact 0
		.amdhsa_exception_int_div_zero 0
	.end_amdhsa_kernel
	.section	.text._ZN9rocsolver6v33100L18larfg_kernel_smallILi256E19rocblas_complex_numIdEldPKPS3_EEvT1_T3_llPT2_llS8_lS7_lPT0_l,"axG",@progbits,_ZN9rocsolver6v33100L18larfg_kernel_smallILi256E19rocblas_complex_numIdEldPKPS3_EEvT1_T3_llPT2_llS8_lS7_lPT0_l,comdat
.Lfunc_end17:
	.size	_ZN9rocsolver6v33100L18larfg_kernel_smallILi256E19rocblas_complex_numIdEldPKPS3_EEvT1_T3_llPT2_llS8_lS7_lPT0_l, .Lfunc_end17-_ZN9rocsolver6v33100L18larfg_kernel_smallILi256E19rocblas_complex_numIdEldPKPS3_EEvT1_T3_llPT2_llS8_lS7_lPT0_l
                                        ; -- End function
	.set _ZN9rocsolver6v33100L18larfg_kernel_smallILi256E19rocblas_complex_numIdEldPKPS3_EEvT1_T3_llPT2_llS8_lS7_lPT0_l.num_vgpr, 43
	.set _ZN9rocsolver6v33100L18larfg_kernel_smallILi256E19rocblas_complex_numIdEldPKPS3_EEvT1_T3_llPT2_llS8_lS7_lPT0_l.num_agpr, 0
	.set _ZN9rocsolver6v33100L18larfg_kernel_smallILi256E19rocblas_complex_numIdEldPKPS3_EEvT1_T3_llPT2_llS8_lS7_lPT0_l.numbered_sgpr, 32
	.set _ZN9rocsolver6v33100L18larfg_kernel_smallILi256E19rocblas_complex_numIdEldPKPS3_EEvT1_T3_llPT2_llS8_lS7_lPT0_l.num_named_barrier, 0
	.set _ZN9rocsolver6v33100L18larfg_kernel_smallILi256E19rocblas_complex_numIdEldPKPS3_EEvT1_T3_llPT2_llS8_lS7_lPT0_l.private_seg_size, 0
	.set _ZN9rocsolver6v33100L18larfg_kernel_smallILi256E19rocblas_complex_numIdEldPKPS3_EEvT1_T3_llPT2_llS8_lS7_lPT0_l.uses_vcc, 1
	.set _ZN9rocsolver6v33100L18larfg_kernel_smallILi256E19rocblas_complex_numIdEldPKPS3_EEvT1_T3_llPT2_llS8_lS7_lPT0_l.uses_flat_scratch, 0
	.set _ZN9rocsolver6v33100L18larfg_kernel_smallILi256E19rocblas_complex_numIdEldPKPS3_EEvT1_T3_llPT2_llS8_lS7_lPT0_l.has_dyn_sized_stack, 0
	.set _ZN9rocsolver6v33100L18larfg_kernel_smallILi256E19rocblas_complex_numIdEldPKPS3_EEvT1_T3_llPT2_llS8_lS7_lPT0_l.has_recursion, 0
	.set _ZN9rocsolver6v33100L18larfg_kernel_smallILi256E19rocblas_complex_numIdEldPKPS3_EEvT1_T3_llPT2_llS8_lS7_lPT0_l.has_indirect_call, 0
	.section	.AMDGPU.csdata,"",@progbits
; Kernel info:
; codeLenInByte = 2052
; TotalNumSgprs: 38
; NumVgprs: 43
; NumAgprs: 0
; TotalNumVgprs: 43
; ScratchSize: 0
; MemoryBound: 0
; FloatMode: 240
; IeeeMode: 1
; LDSByteSize: 64 bytes/workgroup (compile time only)
; SGPRBlocks: 4
; VGPRBlocks: 5
; NumSGPRsForWavesPerEU: 38
; NumVGPRsForWavesPerEU: 43
; AccumOffset: 44
; Occupancy: 8
; WaveLimiterHint : 1
; COMPUTE_PGM_RSRC2:SCRATCH_EN: 0
; COMPUTE_PGM_RSRC2:USER_SGPR: 2
; COMPUTE_PGM_RSRC2:TRAP_HANDLER: 0
; COMPUTE_PGM_RSRC2:TGID_X_EN: 1
; COMPUTE_PGM_RSRC2:TGID_Y_EN: 0
; COMPUTE_PGM_RSRC2:TGID_Z_EN: 1
; COMPUTE_PGM_RSRC2:TIDIG_COMP_CNT: 0
; COMPUTE_PGM_RSRC3_GFX90A:ACCUM_OFFSET: 10
; COMPUTE_PGM_RSRC3_GFX90A:TG_SPLIT: 0
	.section	.text._ZN9rocsolver6v33100L18larfg_kernel_smallILi512E19rocblas_complex_numIdEldPKPS3_EEvT1_T3_llPT2_llS8_lS7_lPT0_l,"axG",@progbits,_ZN9rocsolver6v33100L18larfg_kernel_smallILi512E19rocblas_complex_numIdEldPKPS3_EEvT1_T3_llPT2_llS8_lS7_lPT0_l,comdat
	.globl	_ZN9rocsolver6v33100L18larfg_kernel_smallILi512E19rocblas_complex_numIdEldPKPS3_EEvT1_T3_llPT2_llS8_lS7_lPT0_l ; -- Begin function _ZN9rocsolver6v33100L18larfg_kernel_smallILi512E19rocblas_complex_numIdEldPKPS3_EEvT1_T3_llPT2_llS8_lS7_lPT0_l
	.p2align	8
	.type	_ZN9rocsolver6v33100L18larfg_kernel_smallILi512E19rocblas_complex_numIdEldPKPS3_EEvT1_T3_llPT2_llS8_lS7_lPT0_l,@function
_ZN9rocsolver6v33100L18larfg_kernel_smallILi512E19rocblas_complex_numIdEldPKPS3_EEvT1_T3_llPT2_llS8_lS7_lPT0_l: ; @_ZN9rocsolver6v33100L18larfg_kernel_smallILi512E19rocblas_complex_numIdEldPKPS3_EEvT1_T3_llPT2_llS8_lS7_lPT0_l
; %bb.0:
	s_mov_b32 s20, s3
	s_load_dwordx4 s[16:19], s[0:1], 0x0
	s_load_dwordx2 s[22:23], s[0:1], 0x10
	s_load_dwordx8 s[4:11], s[0:1], 0x20
	s_load_dwordx4 s[12:15], s[0:1], 0x40
	s_mov_b32 s21, 0
	s_lshl_b64 s[24:25], s[20:21], 3
	s_waitcnt lgkmcnt(0)
	s_add_u32 s2, s18, s24
	s_addc_u32 s3, s19, s25
	s_add_u32 s10, s10, s24
	s_addc_u32 s11, s11, s25
	s_load_dwordx2 s[10:11], s[10:11], 0x0
	s_cmp_eq_u64 s[4:5], 0
	s_mov_b64 s[18:19], 0
	s_cbranch_scc1 .LBB18_2
; %bb.1:
	s_mul_i32 s9, s9, s20
	s_mul_hi_u32 s18, s8, s20
	s_add_i32 s9, s18, s9
	s_mul_i32 s8, s8, s20
	s_lshl_b64 s[8:9], s[8:9], 3
	s_add_u32 s8, s4, s8
	s_addc_u32 s9, s5, s9
	s_lshl_b64 s[4:5], s[6:7], 3
	s_add_u32 s18, s8, s4
	s_addc_u32 s19, s9, s5
.LBB18_2:
	s_load_dwordx2 s[4:5], s[2:3], 0x0
	s_add_u32 s8, s16, -1
	v_mov_b32_e32 v1, 0
	s_addc_u32 s9, s17, -1
	v_cmp_gt_i64_e64 s[2:3], s[8:9], v[0:1]
	v_mov_b64_e32 v[2:3], 0
	v_mov_b64_e32 v[4:5], 0
	s_and_saveexec_b64 s[6:7], s[2:3]
	s_cbranch_execz .LBB18_6
; %bb.3:
	v_mad_u64_u32 v[2:3], s[16:17], s14, v0, 0
	v_mov_b32_e32 v4, v3
	v_mad_u64_u32 v[4:5], s[16:17], s15, v0, v[4:5]
	s_lshl_b64 s[16:17], s[12:13], 4
	s_waitcnt lgkmcnt(0)
	s_add_u32 s16, s10, s16
	v_mov_b32_e32 v3, v4
	s_addc_u32 s17, s11, s17
	v_lshl_add_u64 v[6:7], v[2:3], 4, s[16:17]
	s_lshl_b64 s[16:17], s[14:15], 13
	v_mov_b64_e32 v[2:3], 0
	s_mov_b64 s[24:25], 0
	s_mov_b64 s[26:27], 0x200
	v_mov_b64_e32 v[8:9], v[0:1]
	v_mov_b64_e32 v[4:5], 0
.LBB18_4:                               ; =>This Inner Loop Header: Depth=1
	flat_load_dwordx4 v[10:13], v[6:7]
	v_lshl_add_u64 v[8:9], v[8:9], 0, s[26:27]
	v_cmp_le_i64_e32 vcc, s[8:9], v[8:9]
	v_lshl_add_u64 v[6:7], v[6:7], 0, s[16:17]
	s_or_b64 s[24:25], vcc, s[24:25]
	s_waitcnt vmcnt(0) lgkmcnt(0)
	v_mul_f64 v[14:15], v[12:13], v[12:13]
	v_mul_f64 v[16:17], v[10:11], v[12:13]
	v_fmac_f64_e32 v[14:15], v[10:11], v[10:11]
	v_fma_f64 v[10:11], v[10:11], v[12:13], -v[16:17]
	v_add_f64 v[4:5], v[4:5], v[14:15]
	v_add_f64 v[2:3], v[2:3], v[10:11]
	s_andn2_b64 exec, exec, s[24:25]
	s_cbranch_execnz .LBB18_4
; %bb.5:
	s_or_b64 exec, exec, s[24:25]
.LBB18_6:
	s_or_b64 exec, exec, s[6:7]
	v_mbcnt_lo_u32_b32 v6, -1, 0
	v_mbcnt_hi_u32_b32 v10, -1, v6
	v_and_b32_e32 v11, 63, v10
	v_cmp_ne_u32_e32 vcc, 63, v11
	s_nop 1
	v_addc_co_u32_e32 v6, vcc, 0, v10, vcc
	v_lshlrev_b32_e32 v9, 2, v6
	ds_bpermute_b32 v6, v9, v4
	ds_bpermute_b32 v7, v9, v5
	ds_bpermute_b32 v8, v9, v2
	ds_bpermute_b32 v9, v9, v3
	v_cmp_gt_u32_e32 vcc, 62, v11
	s_waitcnt lgkmcnt(0)
	v_add_f64 v[4:5], v[4:5], v[6:7]
	v_cndmask_b32_e64 v6, 0, 2, vcc
	v_add_f64 v[2:3], v[2:3], v[8:9]
	v_add_lshl_u32 v9, v6, v10, 2
	ds_bpermute_b32 v6, v9, v4
	ds_bpermute_b32 v7, v9, v5
	ds_bpermute_b32 v8, v9, v2
	ds_bpermute_b32 v9, v9, v3
	v_cmp_gt_u32_e32 vcc, 60, v11
	s_waitcnt lgkmcnt(2)
	v_add_f64 v[4:5], v[4:5], v[6:7]
	v_cndmask_b32_e64 v6, 0, 4, vcc
	s_waitcnt lgkmcnt(0)
	v_add_f64 v[2:3], v[2:3], v[8:9]
	v_add_lshl_u32 v9, v6, v10, 2
	ds_bpermute_b32 v6, v9, v4
	ds_bpermute_b32 v7, v9, v5
	ds_bpermute_b32 v8, v9, v2
	ds_bpermute_b32 v9, v9, v3
	v_cmp_gt_u32_e32 vcc, 56, v11
	s_waitcnt lgkmcnt(2)
	v_add_f64 v[4:5], v[4:5], v[6:7]
	v_cndmask_b32_e64 v6, 0, 8, vcc
	s_waitcnt lgkmcnt(0)
	;; [unrolled: 11-line block ×3, first 2 shown]
	v_add_f64 v[2:3], v[2:3], v[8:9]
	v_add_lshl_u32 v9, v6, v10, 2
	ds_bpermute_b32 v6, v9, v4
	ds_bpermute_b32 v7, v9, v5
	;; [unrolled: 1-line block ×4, first 2 shown]
	s_waitcnt lgkmcnt(2)
	v_add_f64 v[4:5], v[4:5], v[6:7]
	s_waitcnt lgkmcnt(0)
	v_add_f64 v[6:7], v[2:3], v[8:9]
	v_mov_b32_e32 v2, 0x80
	v_lshl_or_b32 v9, v10, 2, v2
	ds_bpermute_b32 v2, v9, v4
	ds_bpermute_b32 v3, v9, v5
	ds_bpermute_b32 v8, v9, v6
	ds_bpermute_b32 v9, v9, v7
	s_waitcnt lgkmcnt(2)
	v_add_f64 v[2:3], v[4:5], v[2:3]
	s_waitcnt lgkmcnt(0)
	v_add_f64 v[4:5], v[6:7], v[8:9]
	v_and_b32_e32 v6, 63, v0
	v_cmp_eq_u32_e32 vcc, 0, v6
	s_and_saveexec_b64 s[6:7], vcc
; %bb.7:
	v_lshrrev_b32_e32 v6, 2, v0
	ds_write_b128 v6, v[2:5]
; %bb.8:
	s_or_b64 exec, exec, s[6:7]
	v_cmp_eq_u32_e32 vcc, 0, v0
	s_waitcnt lgkmcnt(0)
	s_barrier
	s_and_saveexec_b64 s[6:7], vcc
	s_cbranch_execz .LBB18_10
; %bb.9:
	v_mov_b32_e32 v22, 0
	ds_read_b128 v[6:9], v22 offset:16
	ds_read_b128 v[10:13], v22 offset:32
	;; [unrolled: 1-line block ×4, first 2 shown]
	s_waitcnt lgkmcnt(3)
	v_add_f64 v[2:3], v[2:3], v[6:7]
	v_add_f64 v[4:5], v[4:5], v[8:9]
	s_waitcnt lgkmcnt(2)
	v_add_f64 v[2:3], v[2:3], v[10:11]
	v_add_f64 v[4:5], v[4:5], v[12:13]
	;; [unrolled: 3-line block ×3, first 2 shown]
	ds_read_b128 v[2:5], v22 offset:80
	s_waitcnt lgkmcnt(1)
	v_add_f64 v[14:15], v[6:7], v[18:19]
	ds_read_b128 v[6:9], v22 offset:96
	v_add_f64 v[16:17], v[10:11], v[20:21]
	ds_read_b128 v[10:13], v22 offset:112
	s_waitcnt lgkmcnt(2)
	v_add_f64 v[2:3], v[14:15], v[2:3]
	v_add_f64 v[4:5], v[16:17], v[4:5]
	s_waitcnt lgkmcnt(1)
	v_add_f64 v[2:3], v[2:3], v[6:7]
	v_add_f64 v[4:5], v[4:5], v[8:9]
	s_waitcnt lgkmcnt(0)
	v_add_f64 v[2:3], v[2:3], v[10:11]
	v_add_f64 v[4:5], v[4:5], v[12:13]
	ds_write_b128 v22, v[2:5]
.LBB18_10:
	s_or_b64 exec, exec, s[6:7]
	s_waitcnt lgkmcnt(0)
	s_barrier
	s_and_saveexec_b64 s[16:17], vcc
	s_cbranch_execz .LBB18_18
; %bb.11:
	s_lshl_b64 s[6:7], s[22:23], 4
	s_add_u32 s22, s4, s6
	s_addc_u32 s23, s5, s7
	v_mov_b64_e32 v[2:3], s[22:23]
	flat_load_dwordx2 v[6:7], v[2:3] offset:8
	s_load_dwordx4 s[4:7], s[0:1], 0x58
	v_mov_b32_e32 v4, 0
	ds_read_b64 v[10:11], v4
	s_mov_b64 s[26:27], 0
	s_waitcnt lgkmcnt(0)
	s_mul_i32 s1, s7, s20
	s_mul_hi_u32 s7, s6, s20
	s_mul_i32 s0, s6, s20
	s_add_i32 s1, s7, s1
	s_lshl_b64 s[0:1], s[0:1], 4
	s_add_u32 s20, s4, s0
	s_addc_u32 s21, s5, s1
	v_max_f64 v[2:3], v[10:11], v[10:11]
	s_cmp_eq_u64 s[18:19], 0
	s_cselect_b64 s[4:5], -1, 0
	s_cmp_lg_u64 s[18:19], 0
	s_cselect_b64 s[0:1], -1, 0
	s_mov_b64 s[6:7], 0
	s_waitcnt vmcnt(0)
	v_mul_f64 v[8:9], v[6:7], v[6:7]
	v_max_f64 v[2:3], v[2:3], v[8:9]
	v_cmp_nlt_f64_e32 vcc, 0, v[2:3]
                                        ; implicit-def: $vgpr2_vgpr3
	s_and_saveexec_b64 s[24:25], vcc
	s_xor_b64 s[24:25], exec, s[24:25]
	s_cbranch_execz .LBB18_14
; %bb.12:
	v_mov_b32_e32 v5, 0x3ff00000
	v_mov_b32_e32 v6, v4
	;; [unrolled: 1-line block ×3, first 2 shown]
	ds_write_b128 v4, v[4:7]
	v_mov_b32_e32 v5, v4
	s_and_b64 vcc, exec, s[0:1]
	global_store_dwordx4 v4, v[4:7], s[20:21]
	s_cbranch_vccz .LBB18_22
; %bb.13:
	v_mov_b64_e32 v[2:3], s[22:23]
	flat_load_dwordx2 v[2:3], v[2:3]
	s_mov_b64 s[6:7], -1
	s_and_b64 s[6:7], s[6:7], exec
                                        ; implicit-def: $vgpr8_vgpr9
                                        ; implicit-def: $vgpr10_vgpr11
                                        ; implicit-def: $vgpr6_vgpr7
	s_andn2_saveexec_b64 s[24:25], s[24:25]
	s_cbranch_execz .LBB18_23
	s_branch .LBB18_15
.LBB18_14:
	s_andn2_saveexec_b64 s[24:25], s[24:25]
	s_cbranch_execz .LBB18_23
.LBB18_15:
	s_waitcnt vmcnt(0) lgkmcnt(0)
	v_mov_b64_e32 v[2:3], s[22:23]
	flat_load_dwordx2 v[4:5], v[2:3]
	s_mov_b32 s28, 0
	s_brev_b32 s29, 8
	v_mov_b32_e32 v12, 0x100
	v_mov_b32_e32 v13, 0xffffff80
	;; [unrolled: 1-line block ×3, first 2 shown]
	s_and_b64 s[30:31], s[0:1], exec
	s_and_b64 s[26:27], s[4:5], exec
	v_mov_b32_e32 v42, 0
	s_waitcnt vmcnt(0) lgkmcnt(0)
	v_fma_f64 v[2:3], v[4:5], v[4:5], v[8:9]
	v_add_f64 v[2:3], v[10:11], v[2:3]
	v_cmp_gt_f64_e32 vcc, s[28:29], v[2:3]
	s_andn2_b64 s[28:29], s[6:7], exec
	s_nop 0
	v_cndmask_b32_e32 v10, 0, v12, vcc
	v_ldexp_f64 v[2:3], v[2:3], v10
	v_rsq_f64_e32 v[10:11], v[2:3]
	v_cndmask_b32_e32 v17, 0, v13, vcc
	v_cmp_class_f64_e32 vcc, v[2:3], v16
	v_mul_f64 v[12:13], v[2:3], v[10:11]
	v_mul_f64 v[10:11], v[10:11], 0.5
	v_fma_f64 v[14:15], -v[10:11], v[12:13], 0.5
	v_fmac_f64_e32 v[12:13], v[12:13], v[14:15]
	v_fmac_f64_e32 v[10:11], v[10:11], v[14:15]
	v_fma_f64 v[14:15], -v[12:13], v[12:13], v[2:3]
	v_fmac_f64_e32 v[12:13], v[14:15], v[10:11]
	v_fma_f64 v[14:15], -v[12:13], v[12:13], v[2:3]
	v_fmac_f64_e32 v[12:13], v[14:15], v[10:11]
	v_ldexp_f64 v[10:11], v[12:13], v17
	v_cndmask_b32_e32 v3, v11, v3, vcc
	v_cndmask_b32_e32 v2, v10, v2, vcc
	v_xor_b32_e32 v10, 0x80000000, v3
	v_cmp_le_f64_e32 vcc, 0, v[4:5]
	s_nop 1
	v_cndmask_b32_e32 v3, v3, v10, vcc
	v_add_f64 v[10:11], v[4:5], -v[2:3]
	v_add_f64 v[4:5], v[2:3], -v[4:5]
	v_div_scale_f64 v[12:13], s[0:1], v[2:3], v[2:3], -v[6:7]
	v_fmac_f64_e32 v[8:9], v[10:11], v[10:11]
	v_div_scale_f64 v[16:17], s[4:5], v[2:3], v[2:3], v[4:5]
	v_rcp_f64_e32 v[20:21], v[12:13]
	v_div_scale_f64 v[22:23], s[6:7], v[8:9], v[8:9], v[10:11]
	v_div_scale_f64 v[26:27], s[6:7], v[8:9], v[8:9], -v[6:7]
	v_rcp_f64_e32 v[30:31], v[16:17]
	v_rcp_f64_e32 v[32:33], v[22:23]
	;; [unrolled: 1-line block ×3, first 2 shown]
	v_fma_f64 v[36:37], -v[12:13], v[20:21], 1.0
	v_fma_f64 v[38:39], -v[16:17], v[30:31], 1.0
	v_fmac_f64_e32 v[20:21], v[20:21], v[36:37]
	v_fma_f64 v[36:37], -v[22:23], v[32:33], 1.0
	v_fma_f64 v[40:41], -v[26:27], v[34:35], 1.0
	v_fmac_f64_e32 v[30:31], v[30:31], v[38:39]
	v_fma_f64 v[38:39], -v[12:13], v[20:21], 1.0
	v_fmac_f64_e32 v[32:33], v[32:33], v[36:37]
	v_div_scale_f64 v[14:15], s[0:1], -v[6:7], v[2:3], -v[6:7]
	v_fmac_f64_e32 v[34:35], v[34:35], v[40:41]
	v_fma_f64 v[36:37], -v[16:17], v[30:31], 1.0
	v_fmac_f64_e32 v[20:21], v[20:21], v[38:39]
	v_fma_f64 v[38:39], -v[22:23], v[32:33], 1.0
	v_div_scale_f64 v[18:19], s[4:5], v[4:5], v[2:3], v[4:5]
	v_div_scale_f64 v[24:25], vcc, v[10:11], v[8:9], v[10:11]
	v_fma_f64 v[40:41], -v[26:27], v[34:35], 1.0
	v_fmac_f64_e32 v[30:31], v[30:31], v[36:37]
	v_mul_f64 v[36:37], v[14:15], v[20:21]
	v_fmac_f64_e32 v[32:33], v[32:33], v[38:39]
	v_div_scale_f64 v[28:29], s[6:7], -v[6:7], v[8:9], -v[6:7]
	v_fmac_f64_e32 v[34:35], v[34:35], v[40:41]
	v_mul_f64 v[38:39], v[18:19], v[30:31]
	v_fma_f64 v[14:15], -v[12:13], v[36:37], v[14:15]
	v_mul_f64 v[12:13], v[24:25], v[32:33]
	v_mul_f64 v[40:41], v[28:29], v[34:35]
	v_fma_f64 v[16:17], -v[16:17], v[38:39], v[18:19]
	v_fma_f64 v[18:19], -v[22:23], v[12:13], v[24:25]
	;; [unrolled: 1-line block ×3, first 2 shown]
	v_div_fmas_f64 v[12:13], v[18:19], v[32:33], v[12:13]
	s_mov_b64 vcc, s[6:7]
	v_div_fixup_f64 v[10:11], v[12:13], v[8:9], v[10:11]
	v_div_fmas_f64 v[12:13], v[22:23], v[34:35], v[40:41]
	s_mov_b64 vcc, s[4:5]
	v_div_fixup_f64 v[12:13], v[12:13], v[8:9], -v[6:7]
	v_div_fmas_f64 v[8:9], v[16:17], v[30:31], v[38:39]
	s_mov_b64 vcc, s[0:1]
	v_div_fixup_f64 v[4:5], v[8:9], v[2:3], v[4:5]
	v_div_fmas_f64 v[8:9], v[14:15], v[20:21], v[36:37]
	v_div_fixup_f64 v[6:7], v[8:9], v[2:3], -v[6:7]
	ds_write_b128 v42, v[10:13]
	global_store_dwordx4 v42, v[4:7], s[20:21]
	s_or_b64 s[6:7], s[28:29], s[30:31]
	s_or_b64 exec, exec, s[24:25]
	s_and_saveexec_b64 s[0:1], s[6:7]
	s_cbranch_execnz .LBB18_24
.LBB18_16:
	s_or_b64 exec, exec, s[0:1]
	s_and_b64 exec, exec, s[26:27]
	s_cbranch_execz .LBB18_18
.LBB18_17:
	v_mov_b32_e32 v4, 0
	v_mov_b32_e32 v5, v4
	v_mov_b64_e32 v[6:7], s[22:23]
	s_waitcnt vmcnt(0) lgkmcnt(0)
	flat_store_dwordx4 v[6:7], v[2:5]
.LBB18_18:
	s_or_b64 exec, exec, s[16:17]
	s_waitcnt lgkmcnt(0)
	s_barrier
	s_and_saveexec_b64 s[0:1], s[2:3]
	s_cbranch_execz .LBB18_21
; %bb.19:
	v_mad_u64_u32 v[6:7], s[0:1], s14, v0, 0
	s_waitcnt vmcnt(0)
	v_mov_b32_e32 v2, 0
	v_mov_b32_e32 v8, v7
	ds_read_b128 v[2:5], v2
	v_mad_u64_u32 v[8:9], s[0:1], s15, v0, v[8:9]
	s_lshl_b64 s[0:1], s[12:13], 4
	s_add_u32 s0, s10, s0
	v_mov_b32_e32 v7, v8
	s_addc_u32 s1, s11, s1
	v_lshl_add_u64 v[6:7], v[6:7], 4, s[0:1]
	s_lshl_b64 s[0:1], s[14:15], 13
	s_mov_b64 s[2:3], 0
	s_mov_b64 s[4:5], 0x200
.LBB18_20:                              ; =>This Inner Loop Header: Depth=1
	flat_load_dwordx4 v[8:11], v[6:7]
	v_lshl_add_u64 v[0:1], v[0:1], 0, s[4:5]
	v_cmp_le_i64_e32 vcc, s[8:9], v[0:1]
	s_or_b64 s[2:3], vcc, s[2:3]
	s_waitcnt vmcnt(0) lgkmcnt(0)
	v_mul_f64 v[14:15], v[4:5], v[10:11]
	v_mul_f64 v[12:13], v[2:3], v[10:11]
	v_fma_f64 v[10:11], v[2:3], v[8:9], -v[14:15]
	v_fmac_f64_e32 v[12:13], v[4:5], v[8:9]
	flat_store_dwordx4 v[6:7], v[10:13]
	v_lshl_add_u64 v[6:7], v[6:7], 0, s[0:1]
	s_andn2_b64 exec, exec, s[2:3]
	s_cbranch_execnz .LBB18_20
.LBB18_21:
	s_endpgm
.LBB18_22:
                                        ; implicit-def: $vgpr2_vgpr3
	s_and_b64 s[6:7], s[6:7], exec
                                        ; implicit-def: $vgpr8_vgpr9
                                        ; implicit-def: $vgpr10_vgpr11
                                        ; implicit-def: $vgpr6_vgpr7
	s_andn2_saveexec_b64 s[24:25], s[24:25]
	s_cbranch_execnz .LBB18_15
.LBB18_23:
	s_or_b64 exec, exec, s[24:25]
	s_and_saveexec_b64 s[0:1], s[6:7]
	s_cbranch_execz .LBB18_16
.LBB18_24:
	v_mov_b32_e32 v4, 0
	s_waitcnt vmcnt(0) lgkmcnt(0)
	global_store_dwordx2 v4, v[2:3], s[18:19]
	v_mov_b64_e32 v[2:3], 1.0
	s_or_b64 s[26:27], s[26:27], exec
	s_or_b64 exec, exec, s[0:1]
	s_and_b64 exec, exec, s[26:27]
	s_cbranch_execnz .LBB18_17
	s_branch .LBB18_18
	.section	.rodata,"a",@progbits
	.p2align	6, 0x0
	.amdhsa_kernel _ZN9rocsolver6v33100L18larfg_kernel_smallILi512E19rocblas_complex_numIdEldPKPS3_EEvT1_T3_llPT2_llS8_lS7_lPT0_l
		.amdhsa_group_segment_fixed_size 128
		.amdhsa_private_segment_fixed_size 0
		.amdhsa_kernarg_size 104
		.amdhsa_user_sgpr_count 2
		.amdhsa_user_sgpr_dispatch_ptr 0
		.amdhsa_user_sgpr_queue_ptr 0
		.amdhsa_user_sgpr_kernarg_segment_ptr 1
		.amdhsa_user_sgpr_dispatch_id 0
		.amdhsa_user_sgpr_kernarg_preload_length 0
		.amdhsa_user_sgpr_kernarg_preload_offset 0
		.amdhsa_user_sgpr_private_segment_size 0
		.amdhsa_uses_dynamic_stack 0
		.amdhsa_enable_private_segment 0
		.amdhsa_system_sgpr_workgroup_id_x 1
		.amdhsa_system_sgpr_workgroup_id_y 0
		.amdhsa_system_sgpr_workgroup_id_z 1
		.amdhsa_system_sgpr_workgroup_info 0
		.amdhsa_system_vgpr_workitem_id 0
		.amdhsa_next_free_vgpr 43
		.amdhsa_next_free_sgpr 32
		.amdhsa_accum_offset 44
		.amdhsa_reserve_vcc 1
		.amdhsa_float_round_mode_32 0
		.amdhsa_float_round_mode_16_64 0
		.amdhsa_float_denorm_mode_32 3
		.amdhsa_float_denorm_mode_16_64 3
		.amdhsa_dx10_clamp 1
		.amdhsa_ieee_mode 1
		.amdhsa_fp16_overflow 0
		.amdhsa_tg_split 0
		.amdhsa_exception_fp_ieee_invalid_op 0
		.amdhsa_exception_fp_denorm_src 0
		.amdhsa_exception_fp_ieee_div_zero 0
		.amdhsa_exception_fp_ieee_overflow 0
		.amdhsa_exception_fp_ieee_underflow 0
		.amdhsa_exception_fp_ieee_inexact 0
		.amdhsa_exception_int_div_zero 0
	.end_amdhsa_kernel
	.section	.text._ZN9rocsolver6v33100L18larfg_kernel_smallILi512E19rocblas_complex_numIdEldPKPS3_EEvT1_T3_llPT2_llS8_lS7_lPT0_l,"axG",@progbits,_ZN9rocsolver6v33100L18larfg_kernel_smallILi512E19rocblas_complex_numIdEldPKPS3_EEvT1_T3_llPT2_llS8_lS7_lPT0_l,comdat
.Lfunc_end18:
	.size	_ZN9rocsolver6v33100L18larfg_kernel_smallILi512E19rocblas_complex_numIdEldPKPS3_EEvT1_T3_llPT2_llS8_lS7_lPT0_l, .Lfunc_end18-_ZN9rocsolver6v33100L18larfg_kernel_smallILi512E19rocblas_complex_numIdEldPKPS3_EEvT1_T3_llPT2_llS8_lS7_lPT0_l
                                        ; -- End function
	.set _ZN9rocsolver6v33100L18larfg_kernel_smallILi512E19rocblas_complex_numIdEldPKPS3_EEvT1_T3_llPT2_llS8_lS7_lPT0_l.num_vgpr, 43
	.set _ZN9rocsolver6v33100L18larfg_kernel_smallILi512E19rocblas_complex_numIdEldPKPS3_EEvT1_T3_llPT2_llS8_lS7_lPT0_l.num_agpr, 0
	.set _ZN9rocsolver6v33100L18larfg_kernel_smallILi512E19rocblas_complex_numIdEldPKPS3_EEvT1_T3_llPT2_llS8_lS7_lPT0_l.numbered_sgpr, 32
	.set _ZN9rocsolver6v33100L18larfg_kernel_smallILi512E19rocblas_complex_numIdEldPKPS3_EEvT1_T3_llPT2_llS8_lS7_lPT0_l.num_named_barrier, 0
	.set _ZN9rocsolver6v33100L18larfg_kernel_smallILi512E19rocblas_complex_numIdEldPKPS3_EEvT1_T3_llPT2_llS8_lS7_lPT0_l.private_seg_size, 0
	.set _ZN9rocsolver6v33100L18larfg_kernel_smallILi512E19rocblas_complex_numIdEldPKPS3_EEvT1_T3_llPT2_llS8_lS7_lPT0_l.uses_vcc, 1
	.set _ZN9rocsolver6v33100L18larfg_kernel_smallILi512E19rocblas_complex_numIdEldPKPS3_EEvT1_T3_llPT2_llS8_lS7_lPT0_l.uses_flat_scratch, 0
	.set _ZN9rocsolver6v33100L18larfg_kernel_smallILi512E19rocblas_complex_numIdEldPKPS3_EEvT1_T3_llPT2_llS8_lS7_lPT0_l.has_dyn_sized_stack, 0
	.set _ZN9rocsolver6v33100L18larfg_kernel_smallILi512E19rocblas_complex_numIdEldPKPS3_EEvT1_T3_llPT2_llS8_lS7_lPT0_l.has_recursion, 0
	.set _ZN9rocsolver6v33100L18larfg_kernel_smallILi512E19rocblas_complex_numIdEldPKPS3_EEvT1_T3_llPT2_llS8_lS7_lPT0_l.has_indirect_call, 0
	.section	.AMDGPU.csdata,"",@progbits
; Kernel info:
; codeLenInByte = 2164
; TotalNumSgprs: 38
; NumVgprs: 43
; NumAgprs: 0
; TotalNumVgprs: 43
; ScratchSize: 0
; MemoryBound: 0
; FloatMode: 240
; IeeeMode: 1
; LDSByteSize: 128 bytes/workgroup (compile time only)
; SGPRBlocks: 4
; VGPRBlocks: 5
; NumSGPRsForWavesPerEU: 38
; NumVGPRsForWavesPerEU: 43
; AccumOffset: 44
; Occupancy: 8
; WaveLimiterHint : 1
; COMPUTE_PGM_RSRC2:SCRATCH_EN: 0
; COMPUTE_PGM_RSRC2:USER_SGPR: 2
; COMPUTE_PGM_RSRC2:TRAP_HANDLER: 0
; COMPUTE_PGM_RSRC2:TGID_X_EN: 1
; COMPUTE_PGM_RSRC2:TGID_Y_EN: 0
; COMPUTE_PGM_RSRC2:TGID_Z_EN: 1
; COMPUTE_PGM_RSRC2:TIDIG_COMP_CNT: 0
; COMPUTE_PGM_RSRC3_GFX90A:ACCUM_OFFSET: 10
; COMPUTE_PGM_RSRC3_GFX90A:TG_SPLIT: 0
	.section	.text._ZN9rocsolver6v33100L18larfg_kernel_smallILi1024E19rocblas_complex_numIdEldPKPS3_EEvT1_T3_llPT2_llS8_lS7_lPT0_l,"axG",@progbits,_ZN9rocsolver6v33100L18larfg_kernel_smallILi1024E19rocblas_complex_numIdEldPKPS3_EEvT1_T3_llPT2_llS8_lS7_lPT0_l,comdat
	.globl	_ZN9rocsolver6v33100L18larfg_kernel_smallILi1024E19rocblas_complex_numIdEldPKPS3_EEvT1_T3_llPT2_llS8_lS7_lPT0_l ; -- Begin function _ZN9rocsolver6v33100L18larfg_kernel_smallILi1024E19rocblas_complex_numIdEldPKPS3_EEvT1_T3_llPT2_llS8_lS7_lPT0_l
	.p2align	8
	.type	_ZN9rocsolver6v33100L18larfg_kernel_smallILi1024E19rocblas_complex_numIdEldPKPS3_EEvT1_T3_llPT2_llS8_lS7_lPT0_l,@function
_ZN9rocsolver6v33100L18larfg_kernel_smallILi1024E19rocblas_complex_numIdEldPKPS3_EEvT1_T3_llPT2_llS8_lS7_lPT0_l: ; @_ZN9rocsolver6v33100L18larfg_kernel_smallILi1024E19rocblas_complex_numIdEldPKPS3_EEvT1_T3_llPT2_llS8_lS7_lPT0_l
; %bb.0:
	s_mov_b32 s20, s3
	s_load_dwordx4 s[16:19], s[0:1], 0x0
	s_load_dwordx2 s[22:23], s[0:1], 0x10
	s_load_dwordx8 s[4:11], s[0:1], 0x20
	s_load_dwordx4 s[12:15], s[0:1], 0x40
	s_mov_b32 s21, 0
	s_lshl_b64 s[24:25], s[20:21], 3
	s_waitcnt lgkmcnt(0)
	s_add_u32 s2, s18, s24
	s_addc_u32 s3, s19, s25
	s_add_u32 s10, s10, s24
	s_addc_u32 s11, s11, s25
	s_load_dwordx2 s[10:11], s[10:11], 0x0
	s_cmp_eq_u64 s[4:5], 0
	s_mov_b64 s[18:19], 0
	s_cbranch_scc1 .LBB19_2
; %bb.1:
	s_mul_i32 s9, s9, s20
	s_mul_hi_u32 s18, s8, s20
	s_add_i32 s9, s18, s9
	s_mul_i32 s8, s8, s20
	s_lshl_b64 s[8:9], s[8:9], 3
	s_add_u32 s8, s4, s8
	s_addc_u32 s9, s5, s9
	s_lshl_b64 s[4:5], s[6:7], 3
	s_add_u32 s18, s8, s4
	s_addc_u32 s19, s9, s5
.LBB19_2:
	s_load_dwordx2 s[4:5], s[2:3], 0x0
	s_add_u32 s8, s16, -1
	v_mov_b32_e32 v1, 0
	s_addc_u32 s9, s17, -1
	v_cmp_gt_i64_e64 s[2:3], s[8:9], v[0:1]
	v_mov_b64_e32 v[2:3], 0
	v_mov_b64_e32 v[4:5], 0
	s_and_saveexec_b64 s[6:7], s[2:3]
	s_cbranch_execz .LBB19_6
; %bb.3:
	v_mad_u64_u32 v[2:3], s[16:17], s14, v0, 0
	v_mov_b32_e32 v4, v3
	v_mad_u64_u32 v[4:5], s[16:17], s15, v0, v[4:5]
	s_lshl_b64 s[16:17], s[12:13], 4
	s_waitcnt lgkmcnt(0)
	s_add_u32 s16, s10, s16
	v_mov_b32_e32 v3, v4
	s_addc_u32 s17, s11, s17
	v_lshl_add_u64 v[6:7], v[2:3], 4, s[16:17]
	s_lshl_b64 s[16:17], s[14:15], 14
	v_mov_b64_e32 v[2:3], 0
	s_mov_b64 s[24:25], 0
	s_mov_b64 s[26:27], 0x400
	v_mov_b64_e32 v[8:9], v[0:1]
	v_mov_b64_e32 v[4:5], 0
.LBB19_4:                               ; =>This Inner Loop Header: Depth=1
	flat_load_dwordx4 v[10:13], v[6:7]
	v_lshl_add_u64 v[8:9], v[8:9], 0, s[26:27]
	v_cmp_le_i64_e32 vcc, s[8:9], v[8:9]
	v_lshl_add_u64 v[6:7], v[6:7], 0, s[16:17]
	s_or_b64 s[24:25], vcc, s[24:25]
	s_waitcnt vmcnt(0) lgkmcnt(0)
	v_mul_f64 v[14:15], v[12:13], v[12:13]
	v_mul_f64 v[16:17], v[10:11], v[12:13]
	v_fmac_f64_e32 v[14:15], v[10:11], v[10:11]
	v_fma_f64 v[10:11], v[10:11], v[12:13], -v[16:17]
	v_add_f64 v[4:5], v[4:5], v[14:15]
	v_add_f64 v[2:3], v[2:3], v[10:11]
	s_andn2_b64 exec, exec, s[24:25]
	s_cbranch_execnz .LBB19_4
; %bb.5:
	s_or_b64 exec, exec, s[24:25]
.LBB19_6:
	s_or_b64 exec, exec, s[6:7]
	v_mbcnt_lo_u32_b32 v6, -1, 0
	v_mbcnt_hi_u32_b32 v10, -1, v6
	v_and_b32_e32 v11, 63, v10
	v_cmp_ne_u32_e32 vcc, 63, v11
	s_nop 1
	v_addc_co_u32_e32 v6, vcc, 0, v10, vcc
	v_lshlrev_b32_e32 v9, 2, v6
	ds_bpermute_b32 v6, v9, v4
	ds_bpermute_b32 v7, v9, v5
	;; [unrolled: 1-line block ×4, first 2 shown]
	v_cmp_gt_u32_e32 vcc, 62, v11
	s_waitcnt lgkmcnt(0)
	v_add_f64 v[4:5], v[4:5], v[6:7]
	v_cndmask_b32_e64 v6, 0, 2, vcc
	v_add_f64 v[2:3], v[2:3], v[8:9]
	v_add_lshl_u32 v9, v6, v10, 2
	ds_bpermute_b32 v6, v9, v4
	ds_bpermute_b32 v7, v9, v5
	ds_bpermute_b32 v8, v9, v2
	ds_bpermute_b32 v9, v9, v3
	v_cmp_gt_u32_e32 vcc, 60, v11
	s_waitcnt lgkmcnt(2)
	v_add_f64 v[4:5], v[4:5], v[6:7]
	v_cndmask_b32_e64 v6, 0, 4, vcc
	s_waitcnt lgkmcnt(0)
	v_add_f64 v[2:3], v[2:3], v[8:9]
	v_add_lshl_u32 v9, v6, v10, 2
	ds_bpermute_b32 v6, v9, v4
	ds_bpermute_b32 v7, v9, v5
	ds_bpermute_b32 v8, v9, v2
	ds_bpermute_b32 v9, v9, v3
	v_cmp_gt_u32_e32 vcc, 56, v11
	s_waitcnt lgkmcnt(2)
	v_add_f64 v[4:5], v[4:5], v[6:7]
	v_cndmask_b32_e64 v6, 0, 8, vcc
	s_waitcnt lgkmcnt(0)
	;; [unrolled: 11-line block ×3, first 2 shown]
	v_add_f64 v[2:3], v[2:3], v[8:9]
	v_add_lshl_u32 v9, v6, v10, 2
	ds_bpermute_b32 v6, v9, v4
	ds_bpermute_b32 v7, v9, v5
	;; [unrolled: 1-line block ×4, first 2 shown]
	s_waitcnt lgkmcnt(2)
	v_add_f64 v[4:5], v[4:5], v[6:7]
	s_waitcnt lgkmcnt(0)
	v_add_f64 v[6:7], v[2:3], v[8:9]
	v_mov_b32_e32 v2, 0x80
	v_lshl_or_b32 v9, v10, 2, v2
	ds_bpermute_b32 v2, v9, v4
	ds_bpermute_b32 v3, v9, v5
	;; [unrolled: 1-line block ×4, first 2 shown]
	s_waitcnt lgkmcnt(2)
	v_add_f64 v[2:3], v[4:5], v[2:3]
	s_waitcnt lgkmcnt(0)
	v_add_f64 v[4:5], v[6:7], v[8:9]
	v_and_b32_e32 v6, 63, v0
	v_cmp_eq_u32_e32 vcc, 0, v6
	s_and_saveexec_b64 s[6:7], vcc
; %bb.7:
	v_lshrrev_b32_e32 v6, 2, v0
	ds_write_b128 v6, v[2:5]
; %bb.8:
	s_or_b64 exec, exec, s[6:7]
	v_cmp_eq_u32_e32 vcc, 0, v0
	s_waitcnt lgkmcnt(0)
	s_barrier
	s_and_saveexec_b64 s[6:7], vcc
	s_cbranch_execz .LBB19_10
; %bb.9:
	v_mov_b32_e32 v22, 0
	ds_read_b128 v[6:9], v22 offset:16
	ds_read_b128 v[10:13], v22 offset:32
	;; [unrolled: 1-line block ×4, first 2 shown]
	s_waitcnt lgkmcnt(3)
	v_add_f64 v[2:3], v[2:3], v[6:7]
	v_add_f64 v[4:5], v[4:5], v[8:9]
	s_waitcnt lgkmcnt(2)
	v_add_f64 v[2:3], v[2:3], v[10:11]
	v_add_f64 v[6:7], v[4:5], v[12:13]
	s_waitcnt lgkmcnt(1)
	v_add_f64 v[8:9], v[2:3], v[14:15]
	ds_read_b128 v[2:5], v22 offset:80
	v_add_f64 v[10:11], v[6:7], v[16:17]
	s_waitcnt lgkmcnt(1)
	v_add_f64 v[12:13], v[8:9], v[18:19]
	ds_read_b128 v[6:9], v22 offset:96
	;; [unrolled: 4-line block ×8, first 2 shown]
	v_add_f64 v[12:13], v[14:15], v[12:13]
	s_waitcnt lgkmcnt(1)
	v_add_f64 v[10:11], v[10:11], v[2:3]
	v_add_f64 v[14:15], v[12:13], v[4:5]
	ds_read_b128 v[2:5], v22 offset:208
	s_waitcnt lgkmcnt(1)
	v_add_f64 v[16:17], v[10:11], v[6:7]
	ds_read_b128 v[10:13], v22 offset:224
	v_add_f64 v[14:15], v[14:15], v[8:9]
	ds_read_b128 v[6:9], v22 offset:240
	s_waitcnt lgkmcnt(2)
	v_add_f64 v[2:3], v[16:17], v[2:3]
	v_add_f64 v[4:5], v[14:15], v[4:5]
	s_waitcnt lgkmcnt(1)
	v_add_f64 v[2:3], v[2:3], v[10:11]
	v_add_f64 v[4:5], v[4:5], v[12:13]
	;; [unrolled: 3-line block ×3, first 2 shown]
	ds_write_b128 v22, v[2:5]
.LBB19_10:
	s_or_b64 exec, exec, s[6:7]
	s_waitcnt lgkmcnt(0)
	s_barrier
	s_and_saveexec_b64 s[16:17], vcc
	s_cbranch_execz .LBB19_18
; %bb.11:
	s_lshl_b64 s[6:7], s[22:23], 4
	s_add_u32 s22, s4, s6
	s_addc_u32 s23, s5, s7
	v_mov_b64_e32 v[2:3], s[22:23]
	flat_load_dwordx2 v[6:7], v[2:3] offset:8
	s_load_dwordx4 s[4:7], s[0:1], 0x58
	v_mov_b32_e32 v4, 0
	ds_read_b64 v[10:11], v4
	s_mov_b64 s[26:27], 0
	s_waitcnt lgkmcnt(0)
	s_mul_i32 s1, s7, s20
	s_mul_hi_u32 s7, s6, s20
	s_mul_i32 s0, s6, s20
	s_add_i32 s1, s7, s1
	s_lshl_b64 s[0:1], s[0:1], 4
	s_add_u32 s20, s4, s0
	s_addc_u32 s21, s5, s1
	v_max_f64 v[2:3], v[10:11], v[10:11]
	s_cmp_eq_u64 s[18:19], 0
	s_cselect_b64 s[4:5], -1, 0
	s_cmp_lg_u64 s[18:19], 0
	s_cselect_b64 s[0:1], -1, 0
	s_mov_b64 s[6:7], 0
	s_waitcnt vmcnt(0)
	v_mul_f64 v[8:9], v[6:7], v[6:7]
	v_max_f64 v[2:3], v[2:3], v[8:9]
	v_cmp_nlt_f64_e32 vcc, 0, v[2:3]
                                        ; implicit-def: $vgpr2_vgpr3
	s_and_saveexec_b64 s[24:25], vcc
	s_xor_b64 s[24:25], exec, s[24:25]
	s_cbranch_execz .LBB19_14
; %bb.12:
	v_mov_b32_e32 v5, 0x3ff00000
	v_mov_b32_e32 v6, v4
	v_mov_b32_e32 v7, v4
	ds_write_b128 v4, v[4:7]
	v_mov_b32_e32 v5, v4
	s_and_b64 vcc, exec, s[0:1]
	global_store_dwordx4 v4, v[4:7], s[20:21]
	s_cbranch_vccz .LBB19_22
; %bb.13:
	v_mov_b64_e32 v[2:3], s[22:23]
	flat_load_dwordx2 v[2:3], v[2:3]
	s_mov_b64 s[6:7], -1
	s_and_b64 s[6:7], s[6:7], exec
                                        ; implicit-def: $vgpr8_vgpr9
                                        ; implicit-def: $vgpr10_vgpr11
                                        ; implicit-def: $vgpr6_vgpr7
	s_andn2_saveexec_b64 s[24:25], s[24:25]
	s_cbranch_execz .LBB19_23
	s_branch .LBB19_15
.LBB19_14:
	s_andn2_saveexec_b64 s[24:25], s[24:25]
	s_cbranch_execz .LBB19_23
.LBB19_15:
	s_waitcnt vmcnt(0) lgkmcnt(0)
	v_mov_b64_e32 v[2:3], s[22:23]
	flat_load_dwordx2 v[4:5], v[2:3]
	s_mov_b32 s28, 0
	s_brev_b32 s29, 8
	v_mov_b32_e32 v12, 0x100
	v_mov_b32_e32 v13, 0xffffff80
	;; [unrolled: 1-line block ×3, first 2 shown]
	s_and_b64 s[30:31], s[0:1], exec
	s_and_b64 s[26:27], s[4:5], exec
	v_mov_b32_e32 v42, 0
	s_waitcnt vmcnt(0) lgkmcnt(0)
	v_fma_f64 v[2:3], v[4:5], v[4:5], v[8:9]
	v_add_f64 v[2:3], v[10:11], v[2:3]
	v_cmp_gt_f64_e32 vcc, s[28:29], v[2:3]
	s_andn2_b64 s[28:29], s[6:7], exec
	s_nop 0
	v_cndmask_b32_e32 v10, 0, v12, vcc
	v_ldexp_f64 v[2:3], v[2:3], v10
	v_rsq_f64_e32 v[10:11], v[2:3]
	v_cndmask_b32_e32 v17, 0, v13, vcc
	v_cmp_class_f64_e32 vcc, v[2:3], v16
	v_mul_f64 v[12:13], v[2:3], v[10:11]
	v_mul_f64 v[10:11], v[10:11], 0.5
	v_fma_f64 v[14:15], -v[10:11], v[12:13], 0.5
	v_fmac_f64_e32 v[12:13], v[12:13], v[14:15]
	v_fmac_f64_e32 v[10:11], v[10:11], v[14:15]
	v_fma_f64 v[14:15], -v[12:13], v[12:13], v[2:3]
	v_fmac_f64_e32 v[12:13], v[14:15], v[10:11]
	v_fma_f64 v[14:15], -v[12:13], v[12:13], v[2:3]
	v_fmac_f64_e32 v[12:13], v[14:15], v[10:11]
	v_ldexp_f64 v[10:11], v[12:13], v17
	v_cndmask_b32_e32 v3, v11, v3, vcc
	v_cndmask_b32_e32 v2, v10, v2, vcc
	v_xor_b32_e32 v10, 0x80000000, v3
	v_cmp_le_f64_e32 vcc, 0, v[4:5]
	s_nop 1
	v_cndmask_b32_e32 v3, v3, v10, vcc
	v_add_f64 v[10:11], v[4:5], -v[2:3]
	v_add_f64 v[4:5], v[2:3], -v[4:5]
	v_div_scale_f64 v[12:13], s[0:1], v[2:3], v[2:3], -v[6:7]
	v_fmac_f64_e32 v[8:9], v[10:11], v[10:11]
	v_div_scale_f64 v[16:17], s[4:5], v[2:3], v[2:3], v[4:5]
	v_rcp_f64_e32 v[20:21], v[12:13]
	v_div_scale_f64 v[22:23], s[6:7], v[8:9], v[8:9], v[10:11]
	v_div_scale_f64 v[26:27], s[6:7], v[8:9], v[8:9], -v[6:7]
	v_rcp_f64_e32 v[30:31], v[16:17]
	v_rcp_f64_e32 v[32:33], v[22:23]
	;; [unrolled: 1-line block ×3, first 2 shown]
	v_fma_f64 v[36:37], -v[12:13], v[20:21], 1.0
	v_fma_f64 v[38:39], -v[16:17], v[30:31], 1.0
	v_fmac_f64_e32 v[20:21], v[20:21], v[36:37]
	v_fma_f64 v[36:37], -v[22:23], v[32:33], 1.0
	v_fma_f64 v[40:41], -v[26:27], v[34:35], 1.0
	v_fmac_f64_e32 v[30:31], v[30:31], v[38:39]
	v_fma_f64 v[38:39], -v[12:13], v[20:21], 1.0
	v_fmac_f64_e32 v[32:33], v[32:33], v[36:37]
	v_div_scale_f64 v[14:15], s[0:1], -v[6:7], v[2:3], -v[6:7]
	v_fmac_f64_e32 v[34:35], v[34:35], v[40:41]
	v_fma_f64 v[36:37], -v[16:17], v[30:31], 1.0
	v_fmac_f64_e32 v[20:21], v[20:21], v[38:39]
	v_fma_f64 v[38:39], -v[22:23], v[32:33], 1.0
	v_div_scale_f64 v[18:19], s[4:5], v[4:5], v[2:3], v[4:5]
	v_div_scale_f64 v[24:25], vcc, v[10:11], v[8:9], v[10:11]
	v_fma_f64 v[40:41], -v[26:27], v[34:35], 1.0
	v_fmac_f64_e32 v[30:31], v[30:31], v[36:37]
	v_mul_f64 v[36:37], v[14:15], v[20:21]
	v_fmac_f64_e32 v[32:33], v[32:33], v[38:39]
	v_div_scale_f64 v[28:29], s[6:7], -v[6:7], v[8:9], -v[6:7]
	v_fmac_f64_e32 v[34:35], v[34:35], v[40:41]
	v_mul_f64 v[38:39], v[18:19], v[30:31]
	v_fma_f64 v[14:15], -v[12:13], v[36:37], v[14:15]
	v_mul_f64 v[12:13], v[24:25], v[32:33]
	v_mul_f64 v[40:41], v[28:29], v[34:35]
	v_fma_f64 v[16:17], -v[16:17], v[38:39], v[18:19]
	v_fma_f64 v[18:19], -v[22:23], v[12:13], v[24:25]
	;; [unrolled: 1-line block ×3, first 2 shown]
	v_div_fmas_f64 v[12:13], v[18:19], v[32:33], v[12:13]
	s_mov_b64 vcc, s[6:7]
	v_div_fixup_f64 v[10:11], v[12:13], v[8:9], v[10:11]
	v_div_fmas_f64 v[12:13], v[22:23], v[34:35], v[40:41]
	s_mov_b64 vcc, s[4:5]
	v_div_fixup_f64 v[12:13], v[12:13], v[8:9], -v[6:7]
	v_div_fmas_f64 v[8:9], v[16:17], v[30:31], v[38:39]
	s_mov_b64 vcc, s[0:1]
	v_div_fixup_f64 v[4:5], v[8:9], v[2:3], v[4:5]
	v_div_fmas_f64 v[8:9], v[14:15], v[20:21], v[36:37]
	v_div_fixup_f64 v[6:7], v[8:9], v[2:3], -v[6:7]
	ds_write_b128 v42, v[10:13]
	global_store_dwordx4 v42, v[4:7], s[20:21]
	s_or_b64 s[6:7], s[28:29], s[30:31]
	s_or_b64 exec, exec, s[24:25]
	s_and_saveexec_b64 s[0:1], s[6:7]
	s_cbranch_execnz .LBB19_24
.LBB19_16:
	s_or_b64 exec, exec, s[0:1]
	s_and_b64 exec, exec, s[26:27]
	s_cbranch_execz .LBB19_18
.LBB19_17:
	v_mov_b32_e32 v4, 0
	v_mov_b32_e32 v5, v4
	v_mov_b64_e32 v[6:7], s[22:23]
	s_waitcnt vmcnt(0) lgkmcnt(0)
	flat_store_dwordx4 v[6:7], v[2:5]
.LBB19_18:
	s_or_b64 exec, exec, s[16:17]
	s_waitcnt lgkmcnt(0)
	s_barrier
	s_and_saveexec_b64 s[0:1], s[2:3]
	s_cbranch_execz .LBB19_21
; %bb.19:
	v_mad_u64_u32 v[6:7], s[0:1], s14, v0, 0
	s_waitcnt vmcnt(0)
	v_mov_b32_e32 v2, 0
	v_mov_b32_e32 v8, v7
	ds_read_b128 v[2:5], v2
	v_mad_u64_u32 v[8:9], s[0:1], s15, v0, v[8:9]
	s_lshl_b64 s[0:1], s[12:13], 4
	s_add_u32 s0, s10, s0
	v_mov_b32_e32 v7, v8
	s_addc_u32 s1, s11, s1
	v_lshl_add_u64 v[6:7], v[6:7], 4, s[0:1]
	s_lshl_b64 s[0:1], s[14:15], 14
	s_mov_b64 s[2:3], 0
	s_mov_b64 s[4:5], 0x400
.LBB19_20:                              ; =>This Inner Loop Header: Depth=1
	flat_load_dwordx4 v[8:11], v[6:7]
	v_lshl_add_u64 v[0:1], v[0:1], 0, s[4:5]
	v_cmp_le_i64_e32 vcc, s[8:9], v[0:1]
	s_or_b64 s[2:3], vcc, s[2:3]
	s_waitcnt vmcnt(0) lgkmcnt(0)
	v_mul_f64 v[14:15], v[4:5], v[10:11]
	v_mul_f64 v[12:13], v[2:3], v[10:11]
	v_fma_f64 v[10:11], v[2:3], v[8:9], -v[14:15]
	v_fmac_f64_e32 v[12:13], v[4:5], v[8:9]
	flat_store_dwordx4 v[6:7], v[10:13]
	v_lshl_add_u64 v[6:7], v[6:7], 0, s[0:1]
	s_andn2_b64 exec, exec, s[2:3]
	s_cbranch_execnz .LBB19_20
.LBB19_21:
	s_endpgm
.LBB19_22:
                                        ; implicit-def: $vgpr2_vgpr3
	s_and_b64 s[6:7], s[6:7], exec
                                        ; implicit-def: $vgpr8_vgpr9
                                        ; implicit-def: $vgpr10_vgpr11
                                        ; implicit-def: $vgpr6_vgpr7
	s_andn2_saveexec_b64 s[24:25], s[24:25]
	s_cbranch_execnz .LBB19_15
.LBB19_23:
	s_or_b64 exec, exec, s[24:25]
	s_and_saveexec_b64 s[0:1], s[6:7]
	s_cbranch_execz .LBB19_16
.LBB19_24:
	v_mov_b32_e32 v4, 0
	s_waitcnt vmcnt(0) lgkmcnt(0)
	global_store_dwordx2 v4, v[2:3], s[18:19]
	v_mov_b64_e32 v[2:3], 1.0
	s_or_b64 s[26:27], s[26:27], exec
	s_or_b64 exec, exec, s[0:1]
	s_and_b64 exec, exec, s[26:27]
	s_cbranch_execnz .LBB19_17
	s_branch .LBB19_18
	.section	.rodata,"a",@progbits
	.p2align	6, 0x0
	.amdhsa_kernel _ZN9rocsolver6v33100L18larfg_kernel_smallILi1024E19rocblas_complex_numIdEldPKPS3_EEvT1_T3_llPT2_llS8_lS7_lPT0_l
		.amdhsa_group_segment_fixed_size 256
		.amdhsa_private_segment_fixed_size 0
		.amdhsa_kernarg_size 104
		.amdhsa_user_sgpr_count 2
		.amdhsa_user_sgpr_dispatch_ptr 0
		.amdhsa_user_sgpr_queue_ptr 0
		.amdhsa_user_sgpr_kernarg_segment_ptr 1
		.amdhsa_user_sgpr_dispatch_id 0
		.amdhsa_user_sgpr_kernarg_preload_length 0
		.amdhsa_user_sgpr_kernarg_preload_offset 0
		.amdhsa_user_sgpr_private_segment_size 0
		.amdhsa_uses_dynamic_stack 0
		.amdhsa_enable_private_segment 0
		.amdhsa_system_sgpr_workgroup_id_x 1
		.amdhsa_system_sgpr_workgroup_id_y 0
		.amdhsa_system_sgpr_workgroup_id_z 1
		.amdhsa_system_sgpr_workgroup_info 0
		.amdhsa_system_vgpr_workitem_id 0
		.amdhsa_next_free_vgpr 43
		.amdhsa_next_free_sgpr 32
		.amdhsa_accum_offset 44
		.amdhsa_reserve_vcc 1
		.amdhsa_float_round_mode_32 0
		.amdhsa_float_round_mode_16_64 0
		.amdhsa_float_denorm_mode_32 3
		.amdhsa_float_denorm_mode_16_64 3
		.amdhsa_dx10_clamp 1
		.amdhsa_ieee_mode 1
		.amdhsa_fp16_overflow 0
		.amdhsa_tg_split 0
		.amdhsa_exception_fp_ieee_invalid_op 0
		.amdhsa_exception_fp_denorm_src 0
		.amdhsa_exception_fp_ieee_div_zero 0
		.amdhsa_exception_fp_ieee_overflow 0
		.amdhsa_exception_fp_ieee_underflow 0
		.amdhsa_exception_fp_ieee_inexact 0
		.amdhsa_exception_int_div_zero 0
	.end_amdhsa_kernel
	.section	.text._ZN9rocsolver6v33100L18larfg_kernel_smallILi1024E19rocblas_complex_numIdEldPKPS3_EEvT1_T3_llPT2_llS8_lS7_lPT0_l,"axG",@progbits,_ZN9rocsolver6v33100L18larfg_kernel_smallILi1024E19rocblas_complex_numIdEldPKPS3_EEvT1_T3_llPT2_llS8_lS7_lPT0_l,comdat
.Lfunc_end19:
	.size	_ZN9rocsolver6v33100L18larfg_kernel_smallILi1024E19rocblas_complex_numIdEldPKPS3_EEvT1_T3_llPT2_llS8_lS7_lPT0_l, .Lfunc_end19-_ZN9rocsolver6v33100L18larfg_kernel_smallILi1024E19rocblas_complex_numIdEldPKPS3_EEvT1_T3_llPT2_llS8_lS7_lPT0_l
                                        ; -- End function
	.set _ZN9rocsolver6v33100L18larfg_kernel_smallILi1024E19rocblas_complex_numIdEldPKPS3_EEvT1_T3_llPT2_llS8_lS7_lPT0_l.num_vgpr, 43
	.set _ZN9rocsolver6v33100L18larfg_kernel_smallILi1024E19rocblas_complex_numIdEldPKPS3_EEvT1_T3_llPT2_llS8_lS7_lPT0_l.num_agpr, 0
	.set _ZN9rocsolver6v33100L18larfg_kernel_smallILi1024E19rocblas_complex_numIdEldPKPS3_EEvT1_T3_llPT2_llS8_lS7_lPT0_l.numbered_sgpr, 32
	.set _ZN9rocsolver6v33100L18larfg_kernel_smallILi1024E19rocblas_complex_numIdEldPKPS3_EEvT1_T3_llPT2_llS8_lS7_lPT0_l.num_named_barrier, 0
	.set _ZN9rocsolver6v33100L18larfg_kernel_smallILi1024E19rocblas_complex_numIdEldPKPS3_EEvT1_T3_llPT2_llS8_lS7_lPT0_l.private_seg_size, 0
	.set _ZN9rocsolver6v33100L18larfg_kernel_smallILi1024E19rocblas_complex_numIdEldPKPS3_EEvT1_T3_llPT2_llS8_lS7_lPT0_l.uses_vcc, 1
	.set _ZN9rocsolver6v33100L18larfg_kernel_smallILi1024E19rocblas_complex_numIdEldPKPS3_EEvT1_T3_llPT2_llS8_lS7_lPT0_l.uses_flat_scratch, 0
	.set _ZN9rocsolver6v33100L18larfg_kernel_smallILi1024E19rocblas_complex_numIdEldPKPS3_EEvT1_T3_llPT2_llS8_lS7_lPT0_l.has_dyn_sized_stack, 0
	.set _ZN9rocsolver6v33100L18larfg_kernel_smallILi1024E19rocblas_complex_numIdEldPKPS3_EEvT1_T3_llPT2_llS8_lS7_lPT0_l.has_recursion, 0
	.set _ZN9rocsolver6v33100L18larfg_kernel_smallILi1024E19rocblas_complex_numIdEldPKPS3_EEvT1_T3_llPT2_llS8_lS7_lPT0_l.has_indirect_call, 0
	.section	.AMDGPU.csdata,"",@progbits
; Kernel info:
; codeLenInByte = 2388
; TotalNumSgprs: 38
; NumVgprs: 43
; NumAgprs: 0
; TotalNumVgprs: 43
; ScratchSize: 0
; MemoryBound: 0
; FloatMode: 240
; IeeeMode: 1
; LDSByteSize: 256 bytes/workgroup (compile time only)
; SGPRBlocks: 4
; VGPRBlocks: 5
; NumSGPRsForWavesPerEU: 38
; NumVGPRsForWavesPerEU: 43
; AccumOffset: 44
; Occupancy: 8
; WaveLimiterHint : 1
; COMPUTE_PGM_RSRC2:SCRATCH_EN: 0
; COMPUTE_PGM_RSRC2:USER_SGPR: 2
; COMPUTE_PGM_RSRC2:TRAP_HANDLER: 0
; COMPUTE_PGM_RSRC2:TGID_X_EN: 1
; COMPUTE_PGM_RSRC2:TGID_Y_EN: 0
; COMPUTE_PGM_RSRC2:TGID_Z_EN: 1
; COMPUTE_PGM_RSRC2:TIDIG_COMP_CNT: 0
; COMPUTE_PGM_RSRC3_GFX90A:ACCUM_OFFSET: 10
; COMPUTE_PGM_RSRC3_GFX90A:TG_SPLIT: 0
	.section	.AMDGPU.gpr_maximums,"",@progbits
	.set amdgpu.max_num_vgpr, 0
	.set amdgpu.max_num_agpr, 0
	.set amdgpu.max_num_sgpr, 0
	.section	.AMDGPU.csdata,"",@progbits
	.type	__hip_cuid_34731f1435e2629c,@object ; @__hip_cuid_34731f1435e2629c
	.section	.bss,"aw",@nobits
	.globl	__hip_cuid_34731f1435e2629c
__hip_cuid_34731f1435e2629c:
	.byte	0                               ; 0x0
	.size	__hip_cuid_34731f1435e2629c, 1

	.ident	"AMD clang version 22.0.0git (https://github.com/RadeonOpenCompute/llvm-project roc-7.2.4 26084 f58b06dce1f9c15707c5f808fd002e18c2accf7e)"
	.section	".note.GNU-stack","",@progbits
	.addrsig
	.addrsig_sym __hip_cuid_34731f1435e2629c
	.amdgpu_metadata
---
amdhsa.kernels:
  - .agpr_count:     0
    .args:
      - .offset:         0
        .size:           4
        .value_kind:     by_value
      - .address_space:  global
        .offset:         8
        .size:           8
        .value_kind:     global_buffer
      - .offset:         16
        .size:           8
        .value_kind:     by_value
      - .offset:         24
        .size:           8
        .value_kind:     by_value
      - .address_space:  global
        .offset:         32
        .size:           8
        .value_kind:     global_buffer
      - .offset:         40
        .size:           8
        .value_kind:     by_value
      - .offset:         48
        .size:           8
        .value_kind:     by_value
      - .address_space:  global
        .offset:         56
        .size:           8
        .value_kind:     global_buffer
      - .offset:         64
        .size:           8
        .value_kind:     by_value
      - .offset:         72
        .size:           4
        .value_kind:     by_value
      - .offset:         80
        .size:           8
        .value_kind:     by_value
      - .address_space:  global
        .offset:         88
        .size:           8
        .value_kind:     global_buffer
      - .offset:         96
        .size:           8
        .value_kind:     by_value
    .group_segment_fixed_size: 16
    .kernarg_segment_align: 8
    .kernarg_segment_size: 104
    .language:       OpenCL C
    .language_version:
      - 2
      - 0
    .max_flat_workgroup_size: 64
    .name:           _ZN9rocsolver6v33100L18larfg_kernel_smallILi64E19rocblas_complex_numIdEidPS3_EEvT1_T3_llPT2_llS6_lS5_lPT0_l
    .private_segment_fixed_size: 0
    .sgpr_count:     32
    .sgpr_spill_count: 0
    .symbol:         _ZN9rocsolver6v33100L18larfg_kernel_smallILi64E19rocblas_complex_numIdEidPS3_EEvT1_T3_llPT2_llS6_lS5_lPT0_l.kd
    .uniform_work_group_size: 1
    .uses_dynamic_stack: false
    .vgpr_count:     42
    .vgpr_spill_count: 0
    .wavefront_size: 64
  - .agpr_count:     0
    .args:
      - .offset:         0
        .size:           4
        .value_kind:     by_value
      - .address_space:  global
        .offset:         8
        .size:           8
        .value_kind:     global_buffer
      - .offset:         16
        .size:           8
        .value_kind:     by_value
      - .offset:         24
        .size:           8
        .value_kind:     by_value
      - .address_space:  global
        .offset:         32
        .size:           8
        .value_kind:     global_buffer
      - .offset:         40
        .size:           8
        .value_kind:     by_value
      - .offset:         48
        .size:           8
        .value_kind:     by_value
      - .address_space:  global
        .offset:         56
        .size:           8
        .value_kind:     global_buffer
      - .offset:         64
        .size:           8
        .value_kind:     by_value
      - .offset:         72
        .size:           4
        .value_kind:     by_value
      - .offset:         80
        .size:           8
        .value_kind:     by_value
      - .address_space:  global
        .offset:         88
        .size:           8
        .value_kind:     global_buffer
      - .offset:         96
        .size:           8
        .value_kind:     by_value
    .group_segment_fixed_size: 32
    .kernarg_segment_align: 8
    .kernarg_segment_size: 104
    .language:       OpenCL C
    .language_version:
      - 2
      - 0
    .max_flat_workgroup_size: 128
    .name:           _ZN9rocsolver6v33100L18larfg_kernel_smallILi128E19rocblas_complex_numIdEidPS3_EEvT1_T3_llPT2_llS6_lS5_lPT0_l
    .private_segment_fixed_size: 0
    .sgpr_count:     32
    .sgpr_spill_count: 0
    .symbol:         _ZN9rocsolver6v33100L18larfg_kernel_smallILi128E19rocblas_complex_numIdEidPS3_EEvT1_T3_llPT2_llS6_lS5_lPT0_l.kd
    .uniform_work_group_size: 1
    .uses_dynamic_stack: false
    .vgpr_count:     42
    .vgpr_spill_count: 0
    .wavefront_size: 64
  - .agpr_count:     0
    .args:
      - .offset:         0
        .size:           4
        .value_kind:     by_value
      - .address_space:  global
        .offset:         8
        .size:           8
        .value_kind:     global_buffer
      - .offset:         16
        .size:           8
        .value_kind:     by_value
      - .offset:         24
        .size:           8
        .value_kind:     by_value
      - .address_space:  global
        .offset:         32
        .size:           8
        .value_kind:     global_buffer
      - .offset:         40
        .size:           8
        .value_kind:     by_value
      - .offset:         48
        .size:           8
        .value_kind:     by_value
      - .address_space:  global
        .offset:         56
        .size:           8
        .value_kind:     global_buffer
      - .offset:         64
        .size:           8
        .value_kind:     by_value
      - .offset:         72
        .size:           4
        .value_kind:     by_value
      - .offset:         80
        .size:           8
        .value_kind:     by_value
      - .address_space:  global
        .offset:         88
        .size:           8
        .value_kind:     global_buffer
      - .offset:         96
        .size:           8
        .value_kind:     by_value
    .group_segment_fixed_size: 64
    .kernarg_segment_align: 8
    .kernarg_segment_size: 104
    .language:       OpenCL C
    .language_version:
      - 2
      - 0
    .max_flat_workgroup_size: 256
    .name:           _ZN9rocsolver6v33100L18larfg_kernel_smallILi256E19rocblas_complex_numIdEidPS3_EEvT1_T3_llPT2_llS6_lS5_lPT0_l
    .private_segment_fixed_size: 0
    .sgpr_count:     32
    .sgpr_spill_count: 0
    .symbol:         _ZN9rocsolver6v33100L18larfg_kernel_smallILi256E19rocblas_complex_numIdEidPS3_EEvT1_T3_llPT2_llS6_lS5_lPT0_l.kd
    .uniform_work_group_size: 1
    .uses_dynamic_stack: false
    .vgpr_count:     42
    .vgpr_spill_count: 0
    .wavefront_size: 64
  - .agpr_count:     0
    .args:
      - .offset:         0
        .size:           4
        .value_kind:     by_value
      - .address_space:  global
        .offset:         8
        .size:           8
        .value_kind:     global_buffer
      - .offset:         16
        .size:           8
        .value_kind:     by_value
      - .offset:         24
        .size:           8
        .value_kind:     by_value
      - .address_space:  global
        .offset:         32
        .size:           8
        .value_kind:     global_buffer
      - .offset:         40
        .size:           8
        .value_kind:     by_value
      - .offset:         48
        .size:           8
        .value_kind:     by_value
      - .address_space:  global
        .offset:         56
        .size:           8
        .value_kind:     global_buffer
      - .offset:         64
        .size:           8
        .value_kind:     by_value
      - .offset:         72
        .size:           4
        .value_kind:     by_value
      - .offset:         80
        .size:           8
        .value_kind:     by_value
      - .address_space:  global
        .offset:         88
        .size:           8
        .value_kind:     global_buffer
      - .offset:         96
        .size:           8
        .value_kind:     by_value
    .group_segment_fixed_size: 128
    .kernarg_segment_align: 8
    .kernarg_segment_size: 104
    .language:       OpenCL C
    .language_version:
      - 2
      - 0
    .max_flat_workgroup_size: 512
    .name:           _ZN9rocsolver6v33100L18larfg_kernel_smallILi512E19rocblas_complex_numIdEidPS3_EEvT1_T3_llPT2_llS6_lS5_lPT0_l
    .private_segment_fixed_size: 0
    .sgpr_count:     32
    .sgpr_spill_count: 0
    .symbol:         _ZN9rocsolver6v33100L18larfg_kernel_smallILi512E19rocblas_complex_numIdEidPS3_EEvT1_T3_llPT2_llS6_lS5_lPT0_l.kd
    .uniform_work_group_size: 1
    .uses_dynamic_stack: false
    .vgpr_count:     42
    .vgpr_spill_count: 0
    .wavefront_size: 64
  - .agpr_count:     0
    .args:
      - .offset:         0
        .size:           4
        .value_kind:     by_value
      - .address_space:  global
        .offset:         8
        .size:           8
        .value_kind:     global_buffer
      - .offset:         16
        .size:           8
        .value_kind:     by_value
      - .offset:         24
        .size:           8
        .value_kind:     by_value
      - .address_space:  global
        .offset:         32
        .size:           8
        .value_kind:     global_buffer
      - .offset:         40
        .size:           8
        .value_kind:     by_value
      - .offset:         48
        .size:           8
        .value_kind:     by_value
      - .address_space:  global
        .offset:         56
        .size:           8
        .value_kind:     global_buffer
      - .offset:         64
        .size:           8
        .value_kind:     by_value
      - .offset:         72
        .size:           4
        .value_kind:     by_value
      - .offset:         80
        .size:           8
        .value_kind:     by_value
      - .address_space:  global
        .offset:         88
        .size:           8
        .value_kind:     global_buffer
      - .offset:         96
        .size:           8
        .value_kind:     by_value
    .group_segment_fixed_size: 256
    .kernarg_segment_align: 8
    .kernarg_segment_size: 104
    .language:       OpenCL C
    .language_version:
      - 2
      - 0
    .max_flat_workgroup_size: 1024
    .name:           _ZN9rocsolver6v33100L18larfg_kernel_smallILi1024E19rocblas_complex_numIdEidPS3_EEvT1_T3_llPT2_llS6_lS5_lPT0_l
    .private_segment_fixed_size: 0
    .sgpr_count:     32
    .sgpr_spill_count: 0
    .symbol:         _ZN9rocsolver6v33100L18larfg_kernel_smallILi1024E19rocblas_complex_numIdEidPS3_EEvT1_T3_llPT2_llS6_lS5_lPT0_l.kd
    .uniform_work_group_size: 1
    .uses_dynamic_stack: false
    .vgpr_count:     42
    .vgpr_spill_count: 0
    .wavefront_size: 64
  - .agpr_count:     0
    .args:
      - .offset:         0
        .size:           4
        .value_kind:     by_value
      - .address_space:  global
        .offset:         8
        .size:           8
        .value_kind:     global_buffer
      - .offset:         16
        .size:           8
        .value_kind:     by_value
      - .offset:         24
        .size:           8
        .value_kind:     by_value
      - .address_space:  global
        .offset:         32
        .size:           8
        .value_kind:     global_buffer
      - .offset:         40
        .size:           8
        .value_kind:     by_value
      - .offset:         48
        .size:           8
        .value_kind:     by_value
      - .address_space:  global
        .offset:         56
        .size:           8
        .value_kind:     global_buffer
      - .offset:         64
        .size:           8
        .value_kind:     by_value
      - .offset:         72
        .size:           4
        .value_kind:     by_value
      - .offset:         80
        .size:           8
        .value_kind:     by_value
      - .address_space:  global
        .offset:         88
        .size:           8
        .value_kind:     global_buffer
      - .offset:         96
        .size:           8
        .value_kind:     by_value
    .group_segment_fixed_size: 16
    .kernarg_segment_align: 8
    .kernarg_segment_size: 104
    .language:       OpenCL C
    .language_version:
      - 2
      - 0
    .max_flat_workgroup_size: 64
    .name:           _ZN9rocsolver6v33100L18larfg_kernel_smallILi64E19rocblas_complex_numIdEidPKPS3_EEvT1_T3_llPT2_llS8_lS7_lPT0_l
    .private_segment_fixed_size: 0
    .sgpr_count:     34
    .sgpr_spill_count: 0
    .symbol:         _ZN9rocsolver6v33100L18larfg_kernel_smallILi64E19rocblas_complex_numIdEidPKPS3_EEvT1_T3_llPT2_llS8_lS7_lPT0_l.kd
    .uniform_work_group_size: 1
    .uses_dynamic_stack: false
    .vgpr_count:     45
    .vgpr_spill_count: 0
    .wavefront_size: 64
  - .agpr_count:     0
    .args:
      - .offset:         0
        .size:           4
        .value_kind:     by_value
      - .address_space:  global
        .offset:         8
        .size:           8
        .value_kind:     global_buffer
      - .offset:         16
        .size:           8
        .value_kind:     by_value
      - .offset:         24
        .size:           8
        .value_kind:     by_value
      - .address_space:  global
        .offset:         32
        .size:           8
        .value_kind:     global_buffer
      - .offset:         40
        .size:           8
        .value_kind:     by_value
      - .offset:         48
        .size:           8
        .value_kind:     by_value
      - .address_space:  global
        .offset:         56
        .size:           8
        .value_kind:     global_buffer
      - .offset:         64
        .size:           8
        .value_kind:     by_value
      - .offset:         72
        .size:           4
        .value_kind:     by_value
      - .offset:         80
        .size:           8
        .value_kind:     by_value
      - .address_space:  global
        .offset:         88
        .size:           8
        .value_kind:     global_buffer
      - .offset:         96
        .size:           8
        .value_kind:     by_value
    .group_segment_fixed_size: 32
    .kernarg_segment_align: 8
    .kernarg_segment_size: 104
    .language:       OpenCL C
    .language_version:
      - 2
      - 0
    .max_flat_workgroup_size: 128
    .name:           _ZN9rocsolver6v33100L18larfg_kernel_smallILi128E19rocblas_complex_numIdEidPKPS3_EEvT1_T3_llPT2_llS8_lS7_lPT0_l
    .private_segment_fixed_size: 0
    .sgpr_count:     34
    .sgpr_spill_count: 0
    .symbol:         _ZN9rocsolver6v33100L18larfg_kernel_smallILi128E19rocblas_complex_numIdEidPKPS3_EEvT1_T3_llPT2_llS8_lS7_lPT0_l.kd
    .uniform_work_group_size: 1
    .uses_dynamic_stack: false
    .vgpr_count:     45
    .vgpr_spill_count: 0
    .wavefront_size: 64
  - .agpr_count:     0
    .args:
      - .offset:         0
        .size:           4
        .value_kind:     by_value
      - .address_space:  global
        .offset:         8
        .size:           8
        .value_kind:     global_buffer
      - .offset:         16
        .size:           8
        .value_kind:     by_value
      - .offset:         24
        .size:           8
        .value_kind:     by_value
      - .address_space:  global
        .offset:         32
        .size:           8
        .value_kind:     global_buffer
      - .offset:         40
        .size:           8
        .value_kind:     by_value
      - .offset:         48
        .size:           8
        .value_kind:     by_value
      - .address_space:  global
        .offset:         56
        .size:           8
        .value_kind:     global_buffer
      - .offset:         64
        .size:           8
        .value_kind:     by_value
      - .offset:         72
        .size:           4
        .value_kind:     by_value
      - .offset:         80
        .size:           8
        .value_kind:     by_value
      - .address_space:  global
        .offset:         88
        .size:           8
        .value_kind:     global_buffer
      - .offset:         96
        .size:           8
        .value_kind:     by_value
    .group_segment_fixed_size: 64
    .kernarg_segment_align: 8
    .kernarg_segment_size: 104
    .language:       OpenCL C
    .language_version:
      - 2
      - 0
    .max_flat_workgroup_size: 256
    .name:           _ZN9rocsolver6v33100L18larfg_kernel_smallILi256E19rocblas_complex_numIdEidPKPS3_EEvT1_T3_llPT2_llS8_lS7_lPT0_l
    .private_segment_fixed_size: 0
    .sgpr_count:     34
    .sgpr_spill_count: 0
    .symbol:         _ZN9rocsolver6v33100L18larfg_kernel_smallILi256E19rocblas_complex_numIdEidPKPS3_EEvT1_T3_llPT2_llS8_lS7_lPT0_l.kd
    .uniform_work_group_size: 1
    .uses_dynamic_stack: false
    .vgpr_count:     45
    .vgpr_spill_count: 0
    .wavefront_size: 64
  - .agpr_count:     0
    .args:
      - .offset:         0
        .size:           4
        .value_kind:     by_value
      - .address_space:  global
        .offset:         8
        .size:           8
        .value_kind:     global_buffer
      - .offset:         16
        .size:           8
        .value_kind:     by_value
      - .offset:         24
        .size:           8
        .value_kind:     by_value
      - .address_space:  global
        .offset:         32
        .size:           8
        .value_kind:     global_buffer
      - .offset:         40
        .size:           8
        .value_kind:     by_value
      - .offset:         48
        .size:           8
        .value_kind:     by_value
      - .address_space:  global
        .offset:         56
        .size:           8
        .value_kind:     global_buffer
      - .offset:         64
        .size:           8
        .value_kind:     by_value
      - .offset:         72
        .size:           4
        .value_kind:     by_value
      - .offset:         80
        .size:           8
        .value_kind:     by_value
      - .address_space:  global
        .offset:         88
        .size:           8
        .value_kind:     global_buffer
      - .offset:         96
        .size:           8
        .value_kind:     by_value
    .group_segment_fixed_size: 128
    .kernarg_segment_align: 8
    .kernarg_segment_size: 104
    .language:       OpenCL C
    .language_version:
      - 2
      - 0
    .max_flat_workgroup_size: 512
    .name:           _ZN9rocsolver6v33100L18larfg_kernel_smallILi512E19rocblas_complex_numIdEidPKPS3_EEvT1_T3_llPT2_llS8_lS7_lPT0_l
    .private_segment_fixed_size: 0
    .sgpr_count:     34
    .sgpr_spill_count: 0
    .symbol:         _ZN9rocsolver6v33100L18larfg_kernel_smallILi512E19rocblas_complex_numIdEidPKPS3_EEvT1_T3_llPT2_llS8_lS7_lPT0_l.kd
    .uniform_work_group_size: 1
    .uses_dynamic_stack: false
    .vgpr_count:     45
    .vgpr_spill_count: 0
    .wavefront_size: 64
  - .agpr_count:     0
    .args:
      - .offset:         0
        .size:           4
        .value_kind:     by_value
      - .address_space:  global
        .offset:         8
        .size:           8
        .value_kind:     global_buffer
      - .offset:         16
        .size:           8
        .value_kind:     by_value
      - .offset:         24
        .size:           8
        .value_kind:     by_value
      - .address_space:  global
        .offset:         32
        .size:           8
        .value_kind:     global_buffer
      - .offset:         40
        .size:           8
        .value_kind:     by_value
      - .offset:         48
        .size:           8
        .value_kind:     by_value
      - .address_space:  global
        .offset:         56
        .size:           8
        .value_kind:     global_buffer
      - .offset:         64
        .size:           8
        .value_kind:     by_value
      - .offset:         72
        .size:           4
        .value_kind:     by_value
      - .offset:         80
        .size:           8
        .value_kind:     by_value
      - .address_space:  global
        .offset:         88
        .size:           8
        .value_kind:     global_buffer
      - .offset:         96
        .size:           8
        .value_kind:     by_value
    .group_segment_fixed_size: 256
    .kernarg_segment_align: 8
    .kernarg_segment_size: 104
    .language:       OpenCL C
    .language_version:
      - 2
      - 0
    .max_flat_workgroup_size: 1024
    .name:           _ZN9rocsolver6v33100L18larfg_kernel_smallILi1024E19rocblas_complex_numIdEidPKPS3_EEvT1_T3_llPT2_llS8_lS7_lPT0_l
    .private_segment_fixed_size: 0
    .sgpr_count:     34
    .sgpr_spill_count: 0
    .symbol:         _ZN9rocsolver6v33100L18larfg_kernel_smallILi1024E19rocblas_complex_numIdEidPKPS3_EEvT1_T3_llPT2_llS8_lS7_lPT0_l.kd
    .uniform_work_group_size: 1
    .uses_dynamic_stack: false
    .vgpr_count:     45
    .vgpr_spill_count: 0
    .wavefront_size: 64
  - .agpr_count:     0
    .args:
      - .offset:         0
        .size:           8
        .value_kind:     by_value
      - .address_space:  global
        .offset:         8
        .size:           8
        .value_kind:     global_buffer
      - .offset:         16
        .size:           8
        .value_kind:     by_value
      - .offset:         24
        .size:           8
        .value_kind:     by_value
      - .address_space:  global
        .offset:         32
        .size:           8
        .value_kind:     global_buffer
      - .offset:         40
        .size:           8
        .value_kind:     by_value
      - .offset:         48
        .size:           8
        .value_kind:     by_value
      - .address_space:  global
        .offset:         56
        .size:           8
        .value_kind:     global_buffer
      - .offset:         64
        .size:           8
        .value_kind:     by_value
      - .offset:         72
        .size:           8
        .value_kind:     by_value
      - .offset:         80
        .size:           8
        .value_kind:     by_value
      - .address_space:  global
        .offset:         88
        .size:           8
        .value_kind:     global_buffer
      - .offset:         96
        .size:           8
        .value_kind:     by_value
    .group_segment_fixed_size: 16
    .kernarg_segment_align: 8
    .kernarg_segment_size: 104
    .language:       OpenCL C
    .language_version:
      - 2
      - 0
    .max_flat_workgroup_size: 64
    .name:           _ZN9rocsolver6v33100L18larfg_kernel_smallILi64E19rocblas_complex_numIdEldPS3_EEvT1_T3_llPT2_llS6_lS5_lPT0_l
    .private_segment_fixed_size: 0
    .sgpr_count:     41
    .sgpr_spill_count: 0
    .symbol:         _ZN9rocsolver6v33100L18larfg_kernel_smallILi64E19rocblas_complex_numIdEldPS3_EEvT1_T3_llPT2_llS6_lS5_lPT0_l.kd
    .uniform_work_group_size: 1
    .uses_dynamic_stack: false
    .vgpr_count:     41
    .vgpr_spill_count: 0
    .wavefront_size: 64
  - .agpr_count:     0
    .args:
      - .offset:         0
        .size:           8
        .value_kind:     by_value
      - .address_space:  global
        .offset:         8
        .size:           8
        .value_kind:     global_buffer
      - .offset:         16
        .size:           8
        .value_kind:     by_value
      - .offset:         24
        .size:           8
        .value_kind:     by_value
      - .address_space:  global
        .offset:         32
        .size:           8
        .value_kind:     global_buffer
      - .offset:         40
        .size:           8
        .value_kind:     by_value
      - .offset:         48
        .size:           8
        .value_kind:     by_value
      - .address_space:  global
        .offset:         56
        .size:           8
        .value_kind:     global_buffer
      - .offset:         64
        .size:           8
        .value_kind:     by_value
      - .offset:         72
        .size:           8
        .value_kind:     by_value
      - .offset:         80
        .size:           8
        .value_kind:     by_value
      - .address_space:  global
        .offset:         88
        .size:           8
        .value_kind:     global_buffer
      - .offset:         96
        .size:           8
        .value_kind:     by_value
    .group_segment_fixed_size: 32
    .kernarg_segment_align: 8
    .kernarg_segment_size: 104
    .language:       OpenCL C
    .language_version:
      - 2
      - 0
    .max_flat_workgroup_size: 128
    .name:           _ZN9rocsolver6v33100L18larfg_kernel_smallILi128E19rocblas_complex_numIdEldPS3_EEvT1_T3_llPT2_llS6_lS5_lPT0_l
    .private_segment_fixed_size: 0
    .sgpr_count:     43
    .sgpr_spill_count: 0
    .symbol:         _ZN9rocsolver6v33100L18larfg_kernel_smallILi128E19rocblas_complex_numIdEldPS3_EEvT1_T3_llPT2_llS6_lS5_lPT0_l.kd
    .uniform_work_group_size: 1
    .uses_dynamic_stack: false
    .vgpr_count:     41
    .vgpr_spill_count: 0
    .wavefront_size: 64
  - .agpr_count:     0
    .args:
      - .offset:         0
        .size:           8
        .value_kind:     by_value
      - .address_space:  global
        .offset:         8
        .size:           8
        .value_kind:     global_buffer
      - .offset:         16
        .size:           8
        .value_kind:     by_value
      - .offset:         24
        .size:           8
        .value_kind:     by_value
      - .address_space:  global
        .offset:         32
        .size:           8
        .value_kind:     global_buffer
      - .offset:         40
        .size:           8
        .value_kind:     by_value
      - .offset:         48
        .size:           8
        .value_kind:     by_value
      - .address_space:  global
        .offset:         56
        .size:           8
        .value_kind:     global_buffer
      - .offset:         64
        .size:           8
        .value_kind:     by_value
      - .offset:         72
        .size:           8
        .value_kind:     by_value
      - .offset:         80
        .size:           8
        .value_kind:     by_value
      - .address_space:  global
        .offset:         88
        .size:           8
        .value_kind:     global_buffer
      - .offset:         96
        .size:           8
        .value_kind:     by_value
    .group_segment_fixed_size: 64
    .kernarg_segment_align: 8
    .kernarg_segment_size: 104
    .language:       OpenCL C
    .language_version:
      - 2
      - 0
    .max_flat_workgroup_size: 256
    .name:           _ZN9rocsolver6v33100L18larfg_kernel_smallILi256E19rocblas_complex_numIdEldPS3_EEvT1_T3_llPT2_llS6_lS5_lPT0_l
    .private_segment_fixed_size: 0
    .sgpr_count:     43
    .sgpr_spill_count: 0
    .symbol:         _ZN9rocsolver6v33100L18larfg_kernel_smallILi256E19rocblas_complex_numIdEldPS3_EEvT1_T3_llPT2_llS6_lS5_lPT0_l.kd
    .uniform_work_group_size: 1
    .uses_dynamic_stack: false
    .vgpr_count:     41
    .vgpr_spill_count: 0
    .wavefront_size: 64
  - .agpr_count:     0
    .args:
      - .offset:         0
        .size:           8
        .value_kind:     by_value
      - .address_space:  global
        .offset:         8
        .size:           8
        .value_kind:     global_buffer
      - .offset:         16
        .size:           8
        .value_kind:     by_value
      - .offset:         24
        .size:           8
        .value_kind:     by_value
      - .address_space:  global
        .offset:         32
        .size:           8
        .value_kind:     global_buffer
      - .offset:         40
        .size:           8
        .value_kind:     by_value
      - .offset:         48
        .size:           8
        .value_kind:     by_value
      - .address_space:  global
        .offset:         56
        .size:           8
        .value_kind:     global_buffer
      - .offset:         64
        .size:           8
        .value_kind:     by_value
      - .offset:         72
        .size:           8
        .value_kind:     by_value
      - .offset:         80
        .size:           8
        .value_kind:     by_value
      - .address_space:  global
        .offset:         88
        .size:           8
        .value_kind:     global_buffer
      - .offset:         96
        .size:           8
        .value_kind:     by_value
    .group_segment_fixed_size: 128
    .kernarg_segment_align: 8
    .kernarg_segment_size: 104
    .language:       OpenCL C
    .language_version:
      - 2
      - 0
    .max_flat_workgroup_size: 512
    .name:           _ZN9rocsolver6v33100L18larfg_kernel_smallILi512E19rocblas_complex_numIdEldPS3_EEvT1_T3_llPT2_llS6_lS5_lPT0_l
    .private_segment_fixed_size: 0
    .sgpr_count:     43
    .sgpr_spill_count: 0
    .symbol:         _ZN9rocsolver6v33100L18larfg_kernel_smallILi512E19rocblas_complex_numIdEldPS3_EEvT1_T3_llPT2_llS6_lS5_lPT0_l.kd
    .uniform_work_group_size: 1
    .uses_dynamic_stack: false
    .vgpr_count:     41
    .vgpr_spill_count: 0
    .wavefront_size: 64
  - .agpr_count:     0
    .args:
      - .offset:         0
        .size:           8
        .value_kind:     by_value
      - .address_space:  global
        .offset:         8
        .size:           8
        .value_kind:     global_buffer
      - .offset:         16
        .size:           8
        .value_kind:     by_value
      - .offset:         24
        .size:           8
        .value_kind:     by_value
      - .address_space:  global
        .offset:         32
        .size:           8
        .value_kind:     global_buffer
      - .offset:         40
        .size:           8
        .value_kind:     by_value
      - .offset:         48
        .size:           8
        .value_kind:     by_value
      - .address_space:  global
        .offset:         56
        .size:           8
        .value_kind:     global_buffer
      - .offset:         64
        .size:           8
        .value_kind:     by_value
      - .offset:         72
        .size:           8
        .value_kind:     by_value
      - .offset:         80
        .size:           8
        .value_kind:     by_value
      - .address_space:  global
        .offset:         88
        .size:           8
        .value_kind:     global_buffer
      - .offset:         96
        .size:           8
        .value_kind:     by_value
    .group_segment_fixed_size: 256
    .kernarg_segment_align: 8
    .kernarg_segment_size: 104
    .language:       OpenCL C
    .language_version:
      - 2
      - 0
    .max_flat_workgroup_size: 1024
    .name:           _ZN9rocsolver6v33100L18larfg_kernel_smallILi1024E19rocblas_complex_numIdEldPS3_EEvT1_T3_llPT2_llS6_lS5_lPT0_l
    .private_segment_fixed_size: 0
    .sgpr_count:     43
    .sgpr_spill_count: 0
    .symbol:         _ZN9rocsolver6v33100L18larfg_kernel_smallILi1024E19rocblas_complex_numIdEldPS3_EEvT1_T3_llPT2_llS6_lS5_lPT0_l.kd
    .uniform_work_group_size: 1
    .uses_dynamic_stack: false
    .vgpr_count:     41
    .vgpr_spill_count: 0
    .wavefront_size: 64
  - .agpr_count:     0
    .args:
      - .offset:         0
        .size:           8
        .value_kind:     by_value
      - .address_space:  global
        .offset:         8
        .size:           8
        .value_kind:     global_buffer
      - .offset:         16
        .size:           8
        .value_kind:     by_value
      - .offset:         24
        .size:           8
        .value_kind:     by_value
      - .address_space:  global
        .offset:         32
        .size:           8
        .value_kind:     global_buffer
      - .offset:         40
        .size:           8
        .value_kind:     by_value
      - .offset:         48
        .size:           8
        .value_kind:     by_value
      - .address_space:  global
        .offset:         56
        .size:           8
        .value_kind:     global_buffer
      - .offset:         64
        .size:           8
        .value_kind:     by_value
      - .offset:         72
        .size:           8
        .value_kind:     by_value
      - .offset:         80
        .size:           8
        .value_kind:     by_value
      - .address_space:  global
        .offset:         88
        .size:           8
        .value_kind:     global_buffer
      - .offset:         96
        .size:           8
        .value_kind:     by_value
    .group_segment_fixed_size: 16
    .kernarg_segment_align: 8
    .kernarg_segment_size: 104
    .language:       OpenCL C
    .language_version:
      - 2
      - 0
    .max_flat_workgroup_size: 64
    .name:           _ZN9rocsolver6v33100L18larfg_kernel_smallILi64E19rocblas_complex_numIdEldPKPS3_EEvT1_T3_llPT2_llS8_lS7_lPT0_l
    .private_segment_fixed_size: 0
    .sgpr_count:     38
    .sgpr_spill_count: 0
    .symbol:         _ZN9rocsolver6v33100L18larfg_kernel_smallILi64E19rocblas_complex_numIdEldPKPS3_EEvT1_T3_llPT2_llS8_lS7_lPT0_l.kd
    .uniform_work_group_size: 1
    .uses_dynamic_stack: false
    .vgpr_count:     43
    .vgpr_spill_count: 0
    .wavefront_size: 64
  - .agpr_count:     0
    .args:
      - .offset:         0
        .size:           8
        .value_kind:     by_value
      - .address_space:  global
        .offset:         8
        .size:           8
        .value_kind:     global_buffer
      - .offset:         16
        .size:           8
        .value_kind:     by_value
      - .offset:         24
        .size:           8
        .value_kind:     by_value
      - .address_space:  global
        .offset:         32
        .size:           8
        .value_kind:     global_buffer
      - .offset:         40
        .size:           8
        .value_kind:     by_value
      - .offset:         48
        .size:           8
        .value_kind:     by_value
      - .address_space:  global
        .offset:         56
        .size:           8
        .value_kind:     global_buffer
      - .offset:         64
        .size:           8
        .value_kind:     by_value
      - .offset:         72
        .size:           8
        .value_kind:     by_value
      - .offset:         80
        .size:           8
        .value_kind:     by_value
      - .address_space:  global
        .offset:         88
        .size:           8
        .value_kind:     global_buffer
      - .offset:         96
        .size:           8
        .value_kind:     by_value
    .group_segment_fixed_size: 32
    .kernarg_segment_align: 8
    .kernarg_segment_size: 104
    .language:       OpenCL C
    .language_version:
      - 2
      - 0
    .max_flat_workgroup_size: 128
    .name:           _ZN9rocsolver6v33100L18larfg_kernel_smallILi128E19rocblas_complex_numIdEldPKPS3_EEvT1_T3_llPT2_llS8_lS7_lPT0_l
    .private_segment_fixed_size: 0
    .sgpr_count:     38
    .sgpr_spill_count: 0
    .symbol:         _ZN9rocsolver6v33100L18larfg_kernel_smallILi128E19rocblas_complex_numIdEldPKPS3_EEvT1_T3_llPT2_llS8_lS7_lPT0_l.kd
    .uniform_work_group_size: 1
    .uses_dynamic_stack: false
    .vgpr_count:     43
    .vgpr_spill_count: 0
    .wavefront_size: 64
  - .agpr_count:     0
    .args:
      - .offset:         0
        .size:           8
        .value_kind:     by_value
      - .address_space:  global
        .offset:         8
        .size:           8
        .value_kind:     global_buffer
      - .offset:         16
        .size:           8
        .value_kind:     by_value
      - .offset:         24
        .size:           8
        .value_kind:     by_value
      - .address_space:  global
        .offset:         32
        .size:           8
        .value_kind:     global_buffer
      - .offset:         40
        .size:           8
        .value_kind:     by_value
      - .offset:         48
        .size:           8
        .value_kind:     by_value
      - .address_space:  global
        .offset:         56
        .size:           8
        .value_kind:     global_buffer
      - .offset:         64
        .size:           8
        .value_kind:     by_value
      - .offset:         72
        .size:           8
        .value_kind:     by_value
      - .offset:         80
        .size:           8
        .value_kind:     by_value
      - .address_space:  global
        .offset:         88
        .size:           8
        .value_kind:     global_buffer
      - .offset:         96
        .size:           8
        .value_kind:     by_value
    .group_segment_fixed_size: 64
    .kernarg_segment_align: 8
    .kernarg_segment_size: 104
    .language:       OpenCL C
    .language_version:
      - 2
      - 0
    .max_flat_workgroup_size: 256
    .name:           _ZN9rocsolver6v33100L18larfg_kernel_smallILi256E19rocblas_complex_numIdEldPKPS3_EEvT1_T3_llPT2_llS8_lS7_lPT0_l
    .private_segment_fixed_size: 0
    .sgpr_count:     38
    .sgpr_spill_count: 0
    .symbol:         _ZN9rocsolver6v33100L18larfg_kernel_smallILi256E19rocblas_complex_numIdEldPKPS3_EEvT1_T3_llPT2_llS8_lS7_lPT0_l.kd
    .uniform_work_group_size: 1
    .uses_dynamic_stack: false
    .vgpr_count:     43
    .vgpr_spill_count: 0
    .wavefront_size: 64
  - .agpr_count:     0
    .args:
      - .offset:         0
        .size:           8
        .value_kind:     by_value
      - .address_space:  global
        .offset:         8
        .size:           8
        .value_kind:     global_buffer
      - .offset:         16
        .size:           8
        .value_kind:     by_value
      - .offset:         24
        .size:           8
        .value_kind:     by_value
      - .address_space:  global
        .offset:         32
        .size:           8
        .value_kind:     global_buffer
      - .offset:         40
        .size:           8
        .value_kind:     by_value
      - .offset:         48
        .size:           8
        .value_kind:     by_value
      - .address_space:  global
        .offset:         56
        .size:           8
        .value_kind:     global_buffer
      - .offset:         64
        .size:           8
        .value_kind:     by_value
      - .offset:         72
        .size:           8
        .value_kind:     by_value
      - .offset:         80
        .size:           8
        .value_kind:     by_value
      - .address_space:  global
        .offset:         88
        .size:           8
        .value_kind:     global_buffer
      - .offset:         96
        .size:           8
        .value_kind:     by_value
    .group_segment_fixed_size: 128
    .kernarg_segment_align: 8
    .kernarg_segment_size: 104
    .language:       OpenCL C
    .language_version:
      - 2
      - 0
    .max_flat_workgroup_size: 512
    .name:           _ZN9rocsolver6v33100L18larfg_kernel_smallILi512E19rocblas_complex_numIdEldPKPS3_EEvT1_T3_llPT2_llS8_lS7_lPT0_l
    .private_segment_fixed_size: 0
    .sgpr_count:     38
    .sgpr_spill_count: 0
    .symbol:         _ZN9rocsolver6v33100L18larfg_kernel_smallILi512E19rocblas_complex_numIdEldPKPS3_EEvT1_T3_llPT2_llS8_lS7_lPT0_l.kd
    .uniform_work_group_size: 1
    .uses_dynamic_stack: false
    .vgpr_count:     43
    .vgpr_spill_count: 0
    .wavefront_size: 64
  - .agpr_count:     0
    .args:
      - .offset:         0
        .size:           8
        .value_kind:     by_value
      - .address_space:  global
        .offset:         8
        .size:           8
        .value_kind:     global_buffer
      - .offset:         16
        .size:           8
        .value_kind:     by_value
      - .offset:         24
        .size:           8
        .value_kind:     by_value
      - .address_space:  global
        .offset:         32
        .size:           8
        .value_kind:     global_buffer
      - .offset:         40
        .size:           8
        .value_kind:     by_value
      - .offset:         48
        .size:           8
        .value_kind:     by_value
      - .address_space:  global
        .offset:         56
        .size:           8
        .value_kind:     global_buffer
      - .offset:         64
        .size:           8
        .value_kind:     by_value
      - .offset:         72
        .size:           8
        .value_kind:     by_value
      - .offset:         80
        .size:           8
        .value_kind:     by_value
      - .address_space:  global
        .offset:         88
        .size:           8
        .value_kind:     global_buffer
      - .offset:         96
        .size:           8
        .value_kind:     by_value
    .group_segment_fixed_size: 256
    .kernarg_segment_align: 8
    .kernarg_segment_size: 104
    .language:       OpenCL C
    .language_version:
      - 2
      - 0
    .max_flat_workgroup_size: 1024
    .name:           _ZN9rocsolver6v33100L18larfg_kernel_smallILi1024E19rocblas_complex_numIdEldPKPS3_EEvT1_T3_llPT2_llS8_lS7_lPT0_l
    .private_segment_fixed_size: 0
    .sgpr_count:     38
    .sgpr_spill_count: 0
    .symbol:         _ZN9rocsolver6v33100L18larfg_kernel_smallILi1024E19rocblas_complex_numIdEldPKPS3_EEvT1_T3_llPT2_llS8_lS7_lPT0_l.kd
    .uniform_work_group_size: 1
    .uses_dynamic_stack: false
    .vgpr_count:     43
    .vgpr_spill_count: 0
    .wavefront_size: 64
amdhsa.target:   amdgcn-amd-amdhsa--gfx950
amdhsa.version:
  - 1
  - 2
...

	.end_amdgpu_metadata
